;; amdgpu-corpus repo=ROCm/rocFFT kind=compiled arch=gfx1030 opt=O3
	.text
	.amdgcn_target "amdgcn-amd-amdhsa--gfx1030"
	.amdhsa_code_object_version 6
	.protected	fft_rtc_fwd_len4096_factors_8_16_4_8_wgs_256_tpt_128_halfLds_dim3_sp_ip_CI_sbrr_dirReg ; -- Begin function fft_rtc_fwd_len4096_factors_8_16_4_8_wgs_256_tpt_128_halfLds_dim3_sp_ip_CI_sbrr_dirReg
	.globl	fft_rtc_fwd_len4096_factors_8_16_4_8_wgs_256_tpt_128_halfLds_dim3_sp_ip_CI_sbrr_dirReg
	.p2align	8
	.type	fft_rtc_fwd_len4096_factors_8_16_4_8_wgs_256_tpt_128_halfLds_dim3_sp_ip_CI_sbrr_dirReg,@function
fft_rtc_fwd_len4096_factors_8_16_4_8_wgs_256_tpt_128_halfLds_dim3_sp_ip_CI_sbrr_dirReg: ; @fft_rtc_fwd_len4096_factors_8_16_4_8_wgs_256_tpt_128_halfLds_dim3_sp_ip_CI_sbrr_dirReg
; %bb.0:
	s_load_dwordx4 s[0:3], s[4:5], 0x8
	v_mov_b32_e32 v1, 0
	v_mov_b32_e32 v2, 0
	v_lshrrev_b32_e32 v130, 7, v0
	v_mov_b32_e32 v4, 0
	v_mov_b32_e32 v6, v2
	v_lshl_or_b32 v3, s6, 1, v130
	v_mov_b32_e32 v5, v1
	s_mov_b32 s6, exec_lo
	s_waitcnt lgkmcnt(0)
	s_load_dwordx2 s[10:11], s[0:1], 0x8
	s_waitcnt lgkmcnt(0)
	v_cmpx_le_u64_e64 s[10:11], v[3:4]
	s_cbranch_execz .LBB0_2
; %bb.1:
	v_cvt_f32_u32_e32 v5, s10
	s_sub_i32 s7, 0, s10
	v_rcp_iflag_f32_e32 v5, v5
	v_mul_f32_e32 v5, 0x4f7ffffe, v5
	v_cvt_u32_f32_e32 v5, v5
	v_mul_lo_u32 v6, s7, v5
	v_mul_hi_u32 v6, v5, v6
	v_add_nc_u32_e32 v5, v5, v6
	v_mul_hi_u32 v5, v3, v5
	v_mul_lo_u32 v6, v5, s10
	v_add_nc_u32_e32 v7, 1, v5
	v_sub_nc_u32_e32 v6, v3, v6
	v_subrev_nc_u32_e32 v8, s10, v6
	v_cmp_le_u32_e32 vcc_lo, s10, v6
	v_cndmask_b32_e32 v6, v6, v8, vcc_lo
	v_cndmask_b32_e32 v5, v5, v7, vcc_lo
	v_cmp_le_u32_e32 vcc_lo, s10, v6
	v_add_nc_u32_e32 v7, 1, v5
	v_mov_b32_e32 v6, v4
	v_cndmask_b32_e32 v5, v5, v7, vcc_lo
.LBB0_2:
	s_or_b32 exec_lo, exec_lo, s6
	s_load_dwordx2 s[14:15], s[0:1], 0x10
	s_load_dwordx2 s[12:13], s[2:3], 0x8
	s_mov_b32 s0, exec_lo
	s_waitcnt lgkmcnt(0)
	v_cmpx_le_u64_e64 s[14:15], v[5:6]
	s_cbranch_execz .LBB0_4
; %bb.3:
	v_cvt_f32_u32_e32 v1, s14
	s_sub_i32 s1, 0, s14
	v_rcp_iflag_f32_e32 v1, v1
	v_mul_f32_e32 v1, 0x4f7ffffe, v1
	v_cvt_u32_f32_e32 v1, v1
	v_mul_lo_u32 v2, s1, v1
	v_mul_hi_u32 v2, v1, v2
	v_add_nc_u32_e32 v1, v1, v2
	v_mul_hi_u32 v1, v5, v1
	v_mul_lo_u32 v2, v1, s14
	v_add_nc_u32_e32 v4, 1, v1
	v_sub_nc_u32_e32 v2, v5, v2
	v_subrev_nc_u32_e32 v7, s14, v2
	v_cmp_le_u32_e32 vcc_lo, s14, v2
	v_cndmask_b32_e32 v2, v2, v7, vcc_lo
	v_cndmask_b32_e32 v1, v1, v4, vcc_lo
	v_cmp_le_u32_e32 vcc_lo, s14, v2
	v_add_nc_u32_e32 v4, 1, v1
	v_mov_b32_e32 v2, 0
	v_cndmask_b32_e32 v1, v1, v4, vcc_lo
.LBB0_4:
	s_or_b32 exec_lo, exec_lo, s0
	v_mad_u64_u32 v[7:8], null, v5, s10, 0
	s_clause 0x2
	s_load_dwordx2 s[8:9], s[4:5], 0x0
	s_load_dwordx2 s[6:7], s[4:5], 0x48
	;; [unrolled: 1-line block ×3, first 2 shown]
	s_clause 0x1
	s_load_dwordx2 s[4:5], s[2:3], 0x0
	s_load_dwordx4 s[0:3], s[2:3], 0x10
	v_and_b32_e32 v95, 0x7f, v0
	v_or_b32_e32 v72, 0x380, v0
	v_or_b32_e32 v68, 0x780, v0
	;; [unrolled: 1-line block ×3, first 2 shown]
	v_mov_b32_e32 v4, v8
	v_mad_u64_u32 v[8:9], null, v1, s14, 0
	v_sub_co_u32 v7, vcc_lo, v3, v7
	v_mad_u64_u32 v[10:11], null, v5, s11, v[4:5]
	v_or_b32_e32 v90, 0x80, v95
	v_mul_lo_u32 v11, s13, v7
	v_mov_b32_e32 v4, v9
	v_or_b32_e32 v82, 0x100, v95
	v_or_b32_e32 v74, 0x180, v95
	;; [unrolled: 1-line block ×3, first 2 shown]
	v_mov_b32_e32 v9, v10
	v_mad_u64_u32 v[3:4], null, v1, s15, v[4:5]
	v_or_b32_e32 v89, 0x280, v95
	v_or_b32_e32 v81, 0x300, v95
	v_sub_co_ci_u32_e32 v4, vcc_lo, 0, v9, vcc_lo
	v_mad_u64_u32 v[9:10], null, s12, v7, 0
	v_sub_co_u32 v5, vcc_lo, v5, v8
	v_mul_lo_u32 v4, s12, v4
	v_sub_co_ci_u32_e32 v3, vcc_lo, v6, v3, vcc_lo
	s_waitcnt lgkmcnt(0)
	v_mul_lo_u32 v6, s1, v5
	v_cmp_gt_u64_e32 vcc_lo, s[16:17], v[1:2]
	v_or_b32_e32 v97, 0x400, v95
	v_mul_lo_u32 v7, s0, v3
	v_or_b32_e32 v87, 0x480, v95
	v_add3_u32 v10, v10, v4, v11
	v_or_b32_e32 v79, 0x500, v95
	v_or_b32_e32 v73, 0x580, v95
	;; [unrolled: 1-line block ×4, first 2 shown]
	v_mad_u64_u32 v[3:4], null, s0, v5, v[9:10]
	v_cmp_le_u64_e64 s0, s[16:17], v[1:2]
	v_or_b32_e32 v80, 0x700, v95
	v_or_b32_e32 v93, 0x800, v95
	v_or_b32_e32 v88, 0x880, v95
	v_or_b32_e32 v78, 0x900, v95
	v_or_b32_e32 v71, 0x980, v95
	v_add3_u32 v4, v6, v4, v7
	v_or_b32_e32 v94, 0xa00, v95
	v_or_b32_e32 v85, 0xa80, v95
	;; [unrolled: 1-line block ×4, first 2 shown]
	v_mad_u64_u32 v[5:6], null, s2, v1, v[3:4]
	v_or_b32_e32 v84, 0xc80, v95
	v_or_b32_e32 v75, 0xd00, v95
	;; [unrolled: 1-line block ×6, first 2 shown]
	v_mov_b32_e32 v3, v6
	v_or_b32_e32 v70, 0xf80, v0
                                        ; implicit-def: $vgpr99
                                        ; implicit-def: $vgpr100
                                        ; implicit-def: $vgpr101
                                        ; implicit-def: $vgpr129
                                        ; implicit-def: $vgpr128
                                        ; implicit-def: $vgpr127
                                        ; implicit-def: $vgpr126
                                        ; implicit-def: $vgpr125
                                        ; implicit-def: $vgpr124
                                        ; implicit-def: $vgpr123
                                        ; implicit-def: $vgpr122
                                        ; implicit-def: $vgpr121
                                        ; implicit-def: $vgpr120
                                        ; implicit-def: $vgpr119
                                        ; implicit-def: $vgpr118
                                        ; implicit-def: $vgpr117
                                        ; implicit-def: $vgpr116
                                        ; implicit-def: $vgpr115
                                        ; implicit-def: $vgpr114
                                        ; implicit-def: $vgpr113
                                        ; implicit-def: $vgpr112
                                        ; implicit-def: $vgpr111
                                        ; implicit-def: $vgpr110
                                        ; implicit-def: $vgpr109
                                        ; implicit-def: $vgpr108
                                        ; implicit-def: $vgpr107
                                        ; implicit-def: $vgpr106
                                        ; implicit-def: $vgpr105
                                        ; implicit-def: $vgpr104
                                        ; implicit-def: $vgpr103
                                        ; implicit-def: $vgpr102
	v_mad_u64_u32 v[1:2], null, s3, v1, v[3:4]
                                        ; implicit-def: $sgpr2_sgpr3
	s_and_saveexec_b32 s1, s0
	s_xor_b32 s0, exec_lo, s1
	s_cbranch_execz .LBB0_6
; %bb.5:
	v_or_b32_e32 v99, 0x80, v95
	v_or_b32_e32 v100, 0x100, v95
	;; [unrolled: 1-line block ×31, first 2 shown]
	s_mov_b64 s[2:3], 0
.LBB0_6:
	s_or_saveexec_b32 s1, s0
	v_mov_b32_e32 v6, v1
	v_mov_b32_e32 v4, s3
	;; [unrolled: 1-line block ×5, first 2 shown]
	v_lshlrev_b64 v[1:2], 3, v[5:6]
	v_mov_b32_e32 v6, s3
	v_mov_b32_e32 v18, s3
	;; [unrolled: 1-line block ×28, first 2 shown]
                                        ; implicit-def: $vgpr24
                                        ; implicit-def: $vgpr22
                                        ; implicit-def: $vgpr26
                                        ; implicit-def: $vgpr20
                                        ; implicit-def: $vgpr42
                                        ; implicit-def: $vgpr36
                                        ; implicit-def: $vgpr40
                                        ; implicit-def: $vgpr54
                                        ; implicit-def: $vgpr46
                                        ; implicit-def: $vgpr52
                                        ; implicit-def: $vgpr44
                                        ; implicit-def: $vgpr66
                                        ; implicit-def: $vgpr60
                                        ; implicit-def: $vgpr64
                                        ; implicit-def: $vgpr62
                                        ; implicit-def: $vgpr38
	s_xor_b32 exec_lo, exec_lo, s1
	s_cbranch_execz .LBB0_8
; %bb.7:
	v_mad_u64_u32 v[3:4], null, s4, v95, 0
	v_mad_u64_u32 v[5:6], null, s4, v98, 0
	;; [unrolled: 1-line block ×4, first 2 shown]
	v_add_co_u32 v47, s0, s6, v1
	v_mad_u64_u32 v[11:12], null, s5, v95, v[4:5]
	v_mad_u64_u32 v[12:13], null, s5, v98, v[6:7]
	;; [unrolled: 1-line block ×3, first 2 shown]
	v_add_co_ci_u32_e64 v48, s0, s7, v2, s0
	v_mov_b32_e32 v4, v11
	v_mad_u64_u32 v[10:11], null, s5, v96, v[10:11]
	v_mov_b32_e32 v6, v12
	v_mad_u64_u32 v[11:12], null, s4, v93, 0
	v_lshlrev_b64 v[3:4], 3, v[3:4]
	v_mov_b32_e32 v8, v13
	v_lshlrev_b64 v[5:6], 3, v[5:6]
	v_lshlrev_b64 v[9:10], 3, v[9:10]
	v_mad_u64_u32 v[19:20], null, s4, v92, 0
	v_mad_u64_u32 v[12:13], null, s5, v93, v[12:13]
	v_add_co_u32 v3, s0, v47, v3
	v_lshlrev_b64 v[7:8], 3, v[7:8]
	v_mad_u64_u32 v[13:14], null, s4, v94, 0
	v_add_co_ci_u32_e64 v4, s0, v48, v4, s0
	v_add_co_u32 v5, s0, v47, v5
	v_add_co_ci_u32_e64 v6, s0, v48, v6, s0
	v_mad_u64_u32 v[21:22], null, s4, v91, 0
	v_add_co_u32 v15, s0, v47, v7
	v_add_co_ci_u32_e64 v16, s0, v48, v8, s0
	v_mov_b32_e32 v7, v14
	v_add_co_u32 v17, s0, v47, v9
	v_add_co_ci_u32_e64 v18, s0, v48, v10, s0
	v_mad_u64_u32 v[23:24], null, s5, v94, v[7:8]
	s_clause 0x3
	global_load_dwordx2 v[3:4], v[3:4], off
	global_load_dwordx2 v[7:8], v[5:6], off
	;; [unrolled: 1-line block ×4, first 2 shown]
	v_mov_b32_e32 v15, v20
	v_mov_b32_e32 v16, v22
	v_mad_u64_u32 v[27:28], null, s4, v90, 0
	v_lshlrev_b64 v[11:12], 3, v[11:12]
	v_mov_b32_e32 v14, v23
	v_mad_u64_u32 v[17:18], null, s5, v92, v[15:16]
	v_mad_u64_u32 v[29:30], null, s4, v89, 0
	v_lshlrev_b64 v[13:14], 3, v[13:14]
	v_add_co_u32 v11, s0, v47, v11
	v_add_co_ci_u32_e64 v12, s0, v48, v12, s0
	v_mad_u64_u32 v[15:16], null, s5, v91, v[16:17]
	v_mov_b32_e32 v20, v17
	v_add_co_u32 v13, s0, v47, v13
	v_add_co_ci_u32_e64 v14, s0, v48, v14, s0
	v_lshlrev_b64 v[16:17], 3, v[19:20]
	v_mov_b32_e32 v22, v15
	v_mov_b32_e32 v15, v28
	v_mad_u64_u32 v[31:32], null, s4, v87, 0
	v_mad_u64_u32 v[33:34], null, s4, v86, 0
	v_lshlrev_b64 v[18:19], 3, v[21:22]
	v_mad_u64_u32 v[20:21], null, s5, v90, v[15:16]
	v_add_co_u32 v15, s0, v47, v16
	v_add_co_ci_u32_e64 v16, s0, v48, v17, s0
	v_add_co_u32 v17, s0, v47, v18
	v_add_co_ci_u32_e64 v18, s0, v48, v19, s0
	v_mov_b32_e32 v28, v20
	v_mov_b32_e32 v19, v30
	v_mad_u64_u32 v[37:38], null, s4, v83, 0
	v_mad_u64_u32 v[43:44], null, s4, v82, 0
	v_mad_u64_u32 v[35:36], null, s5, v89, v[19:20]
	s_clause 0x3
	global_load_dwordx2 v[23:24], v[11:12], off
	global_load_dwordx2 v[21:22], v[13:14], off
	;; [unrolled: 1-line block ×4, first 2 shown]
	v_lshlrev_b64 v[12:13], 3, v[27:28]
	v_mov_b32_e32 v11, v32
	v_mov_b32_e32 v14, v34
	v_mad_u64_u32 v[27:28], null, s4, v88, 0
	v_mov_b32_e32 v30, v35
	v_mad_u64_u32 v[15:16], null, s5, v87, v[11:12]
	v_add_co_u32 v11, s0, v47, v12
	v_add_co_ci_u32_e64 v12, s0, v48, v13, s0
	v_mov_b32_e32 v13, v28
	v_mad_u64_u32 v[45:46], null, s4, v81, 0
	v_mad_u64_u32 v[16:17], null, s5, v86, v[14:15]
	v_mov_b32_e32 v32, v15
	v_lshlrev_b64 v[17:18], 3, v[29:30]
	v_mad_u64_u32 v[49:50], null, s4, v79, 0
	v_mad_u64_u32 v[51:52], null, s4, v80, 0
	v_lshlrev_b64 v[14:15], 3, v[31:32]
	v_mov_b32_e32 v34, v16
	v_add_co_u32 v17, s0, v47, v17
	v_add_co_ci_u32_e64 v18, s0, v48, v18, s0
	v_lshlrev_b64 v[28:29], 3, v[33:34]
	v_mad_u64_u32 v[30:31], null, s5, v88, v[13:14]
	v_mad_u64_u32 v[31:32], null, s4, v85, 0
	v_add_co_u32 v33, s0, v47, v14
	v_add_co_ci_u32_e64 v34, s0, v48, v15, s0
	v_add_co_u32 v35, s0, v47, v28
	v_add_co_ci_u32_e64 v36, s0, v48, v29, s0
	v_mov_b32_e32 v28, v30
	v_mad_u64_u32 v[29:30], null, s4, v84, 0
	v_mov_b32_e32 v13, v32
	v_mad_u64_u32 v[56:57], null, s4, v76, 0
	v_lshlrev_b64 v[27:28], 3, v[27:28]
	v_mad_u64_u32 v[64:65], null, s4, v73, 0
	v_mad_u64_u32 v[39:40], null, s5, v85, v[13:14]
	s_clause 0x3
	global_load_dwordx2 v[15:16], v[11:12], off
	global_load_dwordx2 v[13:14], v[17:18], off
	;; [unrolled: 1-line block ×4, first 2 shown]
	v_mad_u64_u32 v[34:35], null, s5, v84, v[30:31]
	v_mov_b32_e32 v33, v38
	v_add_co_u32 v27, s0, v47, v27
	v_mov_b32_e32 v32, v39
	v_add_co_ci_u32_e64 v28, s0, v48, v28, s0
	v_mad_u64_u32 v[35:36], null, s5, v83, v[33:34]
	v_mov_b32_e32 v30, v34
	v_lshlrev_b64 v[31:32], 3, v[31:32]
	v_mov_b32_e32 v33, v44
	v_mad_u64_u32 v[99:100], null, s4, v67, 0
	v_lshlrev_b64 v[29:30], 3, v[29:30]
	v_mov_b32_e32 v38, v35
	v_add_co_u32 v31, s0, v47, v31
	v_add_co_ci_u32_e64 v32, s0, v48, v32, s0
	v_lshlrev_b64 v[34:35], 3, v[37:38]
	v_add_co_u32 v29, s0, v47, v29
	v_add_co_ci_u32_e64 v30, s0, v48, v30, s0
	v_mov_b32_e32 v107, v75
	v_mad_u64_u32 v[36:37], null, s5, v82, v[33:34]
	v_add_co_u32 v33, s0, v47, v34
	v_add_co_ci_u32_e64 v34, s0, v48, v35, s0
	v_mov_b32_e32 v35, v46
	v_mov_b32_e32 v108, v84
	;; [unrolled: 1-line block ×5, first 2 shown]
	v_mad_u64_u32 v[53:54], null, s5, v81, v[35:36]
	s_clause 0x3
	global_load_dwordx2 v[41:42], v[27:28], off
	global_load_dwordx2 v[35:36], v[31:32], off
	;; [unrolled: 1-line block ×4, first 2 shown]
	v_lshlrev_b64 v[28:29], 3, v[43:44]
	v_mov_b32_e32 v27, v50
	v_mov_b32_e32 v30, v52
	v_mad_u64_u32 v[43:44], null, s4, v78, 0
	v_mov_b32_e32 v46, v53
	v_mad_u64_u32 v[31:32], null, s5, v79, v[27:28]
	v_add_co_u32 v27, s0, v47, v28
	v_add_co_ci_u32_e64 v28, s0, v48, v29, s0
	v_mov_b32_e32 v29, v44
	v_mov_b32_e32 v111, v77
	v_mad_u64_u32 v[32:33], null, s5, v80, v[30:31]
	v_mov_b32_e32 v50, v31
	v_lshlrev_b64 v[33:34], 3, v[45:46]
	v_mov_b32_e32 v112, v85
	v_mov_b32_e32 v113, v94
	;; [unrolled: 1-line block ×3, first 2 shown]
	v_lshlrev_b64 v[30:31], 3, v[49:50]
	v_mov_b32_e32 v52, v32
	v_add_co_u32 v33, s0, v47, v33
	v_add_co_ci_u32_e64 v34, s0, v48, v34, s0
	v_mad_u64_u32 v[49:50], null, s5, v78, v[29:30]
	v_lshlrev_b64 v[44:45], 3, v[51:52]
	v_mad_u64_u32 v[50:51], null, s4, v77, 0
	v_add_co_u32 v52, s0, v47, v30
	v_add_co_ci_u32_e64 v53, s0, v48, v31, s0
	v_add_co_u32 v54, s0, v47, v44
	v_add_co_ci_u32_e64 v55, s0, v48, v45, s0
	v_mov_b32_e32 v29, v51
	v_mad_u64_u32 v[45:46], null, s4, v75, 0
	v_mov_b32_e32 v44, v49
	v_mov_b32_e32 v49, v57
	v_mad_u64_u32 v[58:59], null, s5, v77, v[29:30]
	s_clause 0x3
	global_load_dwordx2 v[31:32], v[27:28], off
	global_load_dwordx2 v[29:30], v[33:34], off
	;; [unrolled: 1-line block ×4, first 2 shown]
	v_lshlrev_b64 v[43:44], 3, v[43:44]
	v_mad_u64_u32 v[52:53], null, s5, v75, v[46:47]
	v_mad_u64_u32 v[53:54], null, s5, v76, v[49:50]
	v_mov_b32_e32 v51, v58
	v_mad_u64_u32 v[58:59], null, s4, v74, 0
	v_add_co_u32 v43, s0, v47, v43
	v_mov_b32_e32 v46, v52
	v_lshlrev_b64 v[49:50], 3, v[50:51]
	v_mov_b32_e32 v57, v53
	v_add_co_ci_u32_e64 v44, s0, v48, v44, s0
	v_lshlrev_b64 v[45:46], 3, v[45:46]
	v_mov_b32_e32 v53, v59
	v_add_co_u32 v49, s0, v47, v49
	v_lshlrev_b64 v[51:52], 3, v[56:57]
	v_mad_u64_u32 v[55:56], null, s4, v72, 0
	v_add_co_ci_u32_e64 v50, s0, v48, v50, s0
	v_add_co_u32 v60, s0, v47, v45
	v_add_co_ci_u32_e64 v61, s0, v48, v46, s0
	v_mad_u64_u32 v[45:46], null, s5, v74, v[53:54]
	v_mov_b32_e32 v46, v56
	v_add_co_u32 v62, s0, v47, v51
	v_add_co_ci_u32_e64 v63, s0, v48, v52, s0
	v_mad_u64_u32 v[56:57], null, s5, v72, v[46:47]
	v_mov_b32_e32 v59, v45
	s_clause 0x3
	global_load_dwordx2 v[53:54], v[43:44], off
	global_load_dwordx2 v[45:46], v[49:50], off
	;; [unrolled: 1-line block ×4, first 2 shown]
	v_mov_b32_e32 v49, v65
	v_mad_u64_u32 v[61:62], null, s4, v71, 0
	v_lshlrev_b64 v[57:58], 3, v[58:59]
	v_mad_u64_u32 v[59:60], null, s4, v68, 0
	v_mad_u64_u32 v[49:50], null, s5, v73, v[49:50]
	v_lshlrev_b64 v[55:56], 3, v[55:56]
	v_add_co_u32 v57, s0, v47, v57
	v_add_co_ci_u32_e64 v58, s0, v48, v58, s0
	v_mov_b32_e32 v50, v60
	v_mov_b32_e32 v65, v49
	v_add_co_u32 v101, s0, v47, v55
	v_add_co_ci_u32_e64 v102, s0, v48, v56, s0
	v_lshlrev_b64 v[55:56], 3, v[64:65]
	v_mad_u64_u32 v[65:66], null, s4, v70, 0
	v_mov_b32_e32 v115, v78
	v_mov_b32_e32 v116, v88
	;; [unrolled: 1-line block ×3, first 2 shown]
	v_add_co_u32 v103, s0, v47, v55
	v_add_co_ci_u32_e64 v104, s0, v48, v56, s0
	v_mov_b32_e32 v118, v68
	v_mov_b32_e32 v119, v80
	;; [unrolled: 1-line block ×12, first 2 shown]
	s_waitcnt vmcnt(1)
	v_mad_u64_u32 v[49:50], null, s5, v68, v[50:51]
	v_mov_b32_e32 v50, v62
	v_mad_u64_u32 v[62:63], null, s5, v71, v[50:51]
	v_mov_b32_e32 v60, v49
	v_mov_b32_e32 v49, v100
	v_mad_u64_u32 v[63:64], null, s4, v69, 0
	v_lshlrev_b64 v[55:56], 3, v[59:60]
	v_mad_u64_u32 v[49:50], null, s5, v67, v[49:50]
	v_mov_b32_e32 v50, v64
	v_add_co_u32 v59, s0, v47, v55
	v_add_co_ci_u32_e64 v60, s0, v48, v56, s0
	v_mov_b32_e32 v100, v49
	v_mad_u64_u32 v[49:50], null, s5, v69, v[50:51]
	v_mov_b32_e32 v50, v66
	v_lshlrev_b64 v[55:56], 3, v[61:62]
	v_lshlrev_b64 v[99:100], 3, v[99:100]
	v_mad_u64_u32 v[61:62], null, s5, v70, v[50:51]
	v_mov_b32_e32 v64, v49
	v_add_co_u32 v105, s0, v47, v55
	v_add_co_ci_u32_e64 v106, s0, v48, v56, s0
	v_lshlrev_b64 v[49:50], 3, v[63:64]
	v_mov_b32_e32 v66, v61
	v_add_co_u32 v61, s0, v47, v99
	v_add_co_ci_u32_e64 v62, s0, v48, v100, s0
	v_lshlrev_b64 v[55:56], 3, v[65:66]
	v_add_co_u32 v63, s0, v47, v49
	v_add_co_ci_u32_e64 v64, s0, v48, v50, s0
	v_add_co_u32 v99, s0, v47, v55
	v_add_co_ci_u32_e64 v100, s0, v48, v56, s0
	s_clause 0x7
	global_load_dwordx2 v[55:56], v[57:58], off
	global_load_dwordx2 v[49:50], v[101:102], off
	;; [unrolled: 1-line block ×8, first 2 shown]
	v_mov_b32_e32 v102, v70
	v_mov_b32_e32 v103, v76
	;; [unrolled: 1-line block ×8, first 2 shown]
.LBB0_8:
	s_or_b32 exec_lo, exec_lo, s1
	v_sub_f32_e32 v23, v3, v23
	v_sub_f32_e32 v24, v4, v24
	;; [unrolled: 1-line block ×6, first 2 shown]
	v_fma_f32 v3, v3, 2.0, -v23
	v_fma_f32 v4, v4, 2.0, -v24
	;; [unrolled: 1-line block ×3, first 2 shown]
	v_sub_f32_e32 v22, v8, v22
	v_fma_f32 v10, v10, 2.0, -v26
	v_fma_f32 v7, v7, 2.0, -v21
	v_sub_f32_e32 v20, v6, v20
	v_fma_f32 v5, v5, 2.0, -v19
	v_sub_f32_e32 v131, v3, v9
	v_sub_f32_e32 v132, v4, v10
	v_add_f32_e32 v133, v25, v24
	v_fma_f32 v6, v6, 2.0, -v20
	v_sub_f32_e32 v134, v21, v20
	v_sub_f32_e32 v20, v7, v5
	v_add_f32_e32 v135, v19, v22
	v_fma_f32 v8, v8, 2.0, -v22
	v_sub_f32_e32 v26, v23, v26
	v_fma_f32 v3, v3, 2.0, -v131
	v_fma_f32 v9, v4, 2.0, -v132
	;; [unrolled: 1-line block ×7, first 2 shown]
	v_sub_f32_e32 v23, v8, v6
	v_sub_f32_e32 v40, v18, v40
	;; [unrolled: 1-line block ×3, first 2 shown]
	v_fmamk_f32 v7, v21, 0xbf3504f3, v24
	v_fmamk_f32 v5, v19, 0xbf3504f3, v10
	v_fma_f32 v6, v8, 2.0, -v23
	v_sub_f32_e32 v36, v14, v36
	v_fma_f32 v8, v3, 2.0, -v4
	v_fmac_f32_e32 v7, 0x3f3504f3, v19
	v_sub_f32_e32 v3, v15, v41
	v_sub_f32_e32 v41, v16, v42
	;; [unrolled: 1-line block ×3, first 2 shown]
	v_fmac_f32_e32 v5, 0xbf3504f3, v21
	v_sub_f32_e32 v21, v131, v23
	v_add_f32_e32 v23, v132, v20
	v_fma_f32 v20, v24, 2.0, -v7
	v_fmamk_f32 v22, v134, 0x3f3504f3, v26
	v_fmamk_f32 v24, v135, 0x3f3504f3, v133
	v_sub_f32_e32 v39, v17, v39
	v_sub_f32_e32 v35, v13, v35
	v_fma_f32 v16, v16, 2.0, -v41
	v_fma_f32 v18, v18, 2.0, -v40
	v_sub_f32_e32 v37, v11, v37
	v_fma_f32 v14, v14, 2.0, -v36
	v_fma_f32 v12, v12, 2.0, -v38
	;; [unrolled: 1-line block ×3, first 2 shown]
	v_fmac_f32_e32 v22, 0xbf3504f3, v135
	v_fmac_f32_e32 v24, 0x3f3504f3, v134
	v_fma_f32 v15, v15, 2.0, -v3
	v_fma_f32 v17, v17, 2.0, -v39
	;; [unrolled: 1-line block ×3, first 2 shown]
	v_sub_f32_e32 v18, v16, v18
	v_fma_f32 v11, v11, 2.0, -v37
	v_sub_f32_e32 v132, v3, v40
	v_add_f32_e32 v134, v39, v41
	v_sub_f32_e32 v135, v35, v38
	v_add_f32_e32 v136, v37, v36
	v_sub_f32_e32 v37, v14, v12
	v_sub_f32_e32 v42, v15, v17
	v_fma_f32 v40, v16, 2.0, -v18
	v_fma_f32 v3, v3, 2.0, -v132
	v_sub_f32_e32 v39, v13, v11
	v_fma_f32 v35, v35, 2.0, -v135
	v_fma_f32 v41, v41, 2.0, -v134
	;; [unrolled: 1-line block ×6, first 2 shown]
	v_fmamk_f32 v13, v35, 0xbf3504f3, v3
	v_fmamk_f32 v15, v16, 0xbf3504f3, v41
	v_sub_f32_e32 v14, v40, v14
	v_sub_f32_e32 v6, v9, v6
	;; [unrolled: 1-line block ×3, first 2 shown]
	v_fmac_f32_e32 v13, 0xbf3504f3, v16
	v_fmac_f32_e32 v15, 0x3f3504f3, v35
	v_fma_f32 v36, v40, 2.0, -v14
	v_add_f32_e32 v40, v18, v39
	v_fma_f32 v19, v9, 2.0, -v6
	v_fma_f32 v9, v10, 2.0, -v5
	;; [unrolled: 1-line block ×5, first 2 shown]
	v_sub_f32_e32 v38, v42, v37
	v_fma_f32 v37, v41, 2.0, -v15
	v_fmamk_f32 v39, v135, 0x3f3504f3, v132
	v_fmamk_f32 v41, v136, 0x3f3504f3, v134
	v_fma_f32 v131, v18, 2.0, -v40
	v_sub_f32_e32 v3, v31, v53
	v_sub_f32_e32 v18, v32, v54
	;; [unrolled: 1-line block ×6, first 2 shown]
	s_waitcnt vmcnt(8)
	v_sub_f32_e32 v43, v27, v43
	v_sub_f32_e32 v44, v28, v44
	v_fma_f32 v11, v26, 2.0, -v22
	v_fma_f32 v26, v133, 2.0, -v24
	v_fmac_f32_e32 v39, 0xbf3504f3, v136
	v_fmac_f32_e32 v41, 0x3f3504f3, v135
	v_fma_f32 v31, v31, 2.0, -v3
	v_fma_f32 v32, v32, 2.0, -v18
	;; [unrolled: 1-line block ×8, first 2 shown]
	v_sub_f32_e32 v133, v3, v51
	v_add_f32_e32 v35, v35, v18
	v_sub_f32_e32 v135, v45, v44
	v_add_f32_e32 v136, v43, v46
	v_sub_f32_e32 v53, v31, v33
	v_sub_f32_e32 v54, v32, v34
	v_fma_f32 v3, v3, 2.0, -v133
	v_sub_f32_e32 v34, v29, v27
	v_sub_f32_e32 v33, v30, v28
	v_fma_f32 v44, v45, 2.0, -v135
	v_fma_f32 v18, v18, 2.0, -v35
	;; [unrolled: 1-line block ×6, first 2 shown]
	v_fmamk_f32 v28, v44, 0xbf3504f3, v3
	v_fmamk_f32 v30, v45, 0xbf3504f3, v18
	v_sub_f32_e32 v33, v53, v33
	v_add_f32_e32 v51, v54, v34
	v_sub_f32_e32 v29, v32, v29
	v_fmac_f32_e32 v28, 0xbf3504f3, v45
	v_fmac_f32_e32 v30, 0x3f3504f3, v44
	v_fma_f32 v31, v31, 2.0, -v53
	v_fmamk_f32 v34, v135, 0x3f3504f3, v133
	v_fma_f32 v44, v32, 2.0, -v29
	v_fma_f32 v32, v3, 2.0, -v28
	;; [unrolled: 1-line block ×5, first 2 shown]
	s_waitcnt vmcnt(3)
	v_sub_f32_e32 v3, v55, v65
	v_sub_f32_e32 v18, v56, v66
	s_waitcnt vmcnt(1)
	v_sub_f32_e32 v54, v57, v63
	v_sub_f32_e32 v63, v58, v64
	;; [unrolled: 1-line block ×4, first 2 shown]
	s_waitcnt vmcnt(0)
	v_sub_f32_e32 v61, v47, v61
	v_sub_f32_e32 v62, v48, v62
	v_fma_f32 v43, v132, 2.0, -v39
	v_fma_f32 v132, v134, 2.0, -v41
	v_fmamk_f32 v52, v136, 0x3f3504f3, v35
	v_fmac_f32_e32 v34, 0xbf3504f3, v136
	v_fma_f32 v56, v56, 2.0, -v18
	v_fma_f32 v58, v58, 2.0, -v63
	v_fma_f32 v49, v49, 2.0, -v59
	v_fma_f32 v50, v50, 2.0, -v60
	v_fma_f32 v47, v47, 2.0, -v61
	v_fma_f32 v48, v48, 2.0, -v62
	v_sub_f32_e32 v134, v3, v63
	v_sub_f32_e32 v136, v59, v62
	v_fmac_f32_e32 v52, 0x3f3504f3, v135
	v_fma_f32 v55, v55, 2.0, -v3
	v_fma_f32 v57, v57, 2.0, -v54
	v_sub_f32_e32 v66, v56, v58
	v_add_f32_e32 v135, v54, v18
	v_fma_f32 v3, v3, 2.0, -v134
	v_add_f32_e32 v137, v61, v60
	v_sub_f32_e32 v63, v49, v47
	v_sub_f32_e32 v61, v50, v48
	v_fma_f32 v59, v59, 2.0, -v136
	v_sub_f32_e32 v65, v55, v57
	v_fma_f32 v58, v56, 2.0, -v66
	v_fma_f32 v18, v18, 2.0, -v135
	;; [unrolled: 1-line block ×5, first 2 shown]
	v_fmamk_f32 v49, v59, 0xbf3504f3, v3
	v_fma_f32 v57, v55, 2.0, -v65
	v_fmamk_f32 v56, v54, 0xbf3504f3, v18
	v_fmamk_f32 v62, v136, 0x3f3504f3, v134
	v_sub_f32_e32 v55, v58, v50
	v_fmac_f32_e32 v49, 0xbf3504f3, v54
	v_fma_f32 v54, v35, 2.0, -v52
	v_lshlrev_b32_e32 v35, 14, v130
	v_fmac_f32_e32 v56, 0x3f3504f3, v59
	v_fma_f32 v59, v58, 2.0, -v55
	v_fma_f32 v58, v3, 2.0, -v49
	;; [unrolled: 1-line block ×3, first 2 shown]
	v_add_nc_u32_e32 v3, 0, v35
	v_fma_f32 v60, v18, 2.0, -v56
	v_sub_f32_e32 v27, v31, v27
	v_sub_f32_e32 v48, v57, v48
	;; [unrolled: 1-line block ×3, first 2 shown]
	v_lshl_add_u32 v18, v95, 5, v3
	v_lshl_add_u32 v50, v99, 5, v3
	v_add_f32_e32 v63, v66, v63
	v_fmac_f32_e32 v62, 0xbf3504f3, v137
	v_fmamk_f32 v64, v137, 0x3f3504f3, v135
	ds_write2_b64 v18, v[8:9], v[10:11] offset1:1
	ds_write2_b64 v18, v[4:5], v[21:22] offset0:2 offset1:3
	ds_write2_b64 v50, v[16:17], v[42:43] offset1:1
	v_lshlrev_b32_e32 v4, 2, v95
	v_fma_f32 v31, v31, 2.0, -v27
	v_fma_f32 v47, v133, 2.0, -v34
	v_lshl_add_u32 v8, v100, 5, v3
	v_fma_f32 v57, v57, 2.0, -v48
	v_fma_f32 v65, v65, 2.0, -v61
	;; [unrolled: 1-line block ×4, first 2 shown]
	v_lshl_add_u32 v9, v101, 5, v3
	v_fmac_f32_e32 v64, 0x3f3504f3, v136
	ds_write2_b64 v50, v[12:13], v[38:39] offset0:2 offset1:3
	ds_write2_b64 v8, v[31:32], v[46:47] offset1:1
	v_add3_u32 v32, 0, v4, v35
	v_add_nc_u32_e32 v31, v3, v4
	v_and_b32_e32 v4, 7, v0
	ds_write2_b64 v8, v[27:28], v[33:34] offset0:2 offset1:3
	ds_write2_b64 v9, v[57:58], v[65:66] offset1:1
	ds_write2_b64 v9, v[48:49], v[61:62] offset0:2 offset1:3
	v_mad_i32_i24 v33, 0xffffffe4, v100, v8
	v_lshl_add_u32 v34, v99, 2, v3
	v_mad_i32_i24 v35, 0xffffffe4, v101, v9
	v_fma_f32 v134, v135, 2.0, -v64
	s_waitcnt lgkmcnt(0)
	s_barrier
	buffer_gl0_inv
	ds_read2st64_b32 v[42:43], v32 offset0:8 offset1:10
	ds_read2st64_b32 v[46:47], v32 offset0:12 offset1:14
	;; [unrolled: 1-line block ×14, first 2 shown]
	ds_read_b32 v163, v31
	ds_read_b32 v164, v33
	ds_read_b32 v5, v34
	ds_read_b32 v165, v35
	s_waitcnt lgkmcnt(0)
	s_barrier
	buffer_gl0_inv
	ds_write2_b64 v18, v[19:20], v[25:26] offset1:1
	ds_write2_b64 v18, v[6:7], v[23:24] offset0:2 offset1:3
	ds_write2_b64 v50, v[36:37], v[131:132] offset1:1
	v_mul_u32_u24_e32 v6, 15, v4
	ds_write2_b64 v50, v[14:15], v[40:41] offset0:2 offset1:3
	ds_write2_b64 v8, v[44:45], v[53:54] offset1:1
	ds_write2_b64 v8, v[29:30], v[51:52] offset0:2 offset1:3
	ds_write2_b64 v9, v[59:60], v[133:134] offset1:1
	ds_write2_b64 v9, v[55:56], v[63:64] offset0:2 offset1:3
	s_waitcnt lgkmcnt(0)
	s_barrier
	v_lshlrev_b32_e32 v30, 3, v6
	buffer_gl0_inv
	s_clause 0x7
	global_load_dwordx4 v[6:9], v30, s[8:9]
	global_load_dwordx4 v[10:13], v30, s[8:9] offset:16
	global_load_dwordx4 v[14:17], v30, s[8:9] offset:32
	;; [unrolled: 1-line block ×6, first 2 shown]
	global_load_dwordx2 v[40:41], v30, s[8:9] offset:112
	ds_read_b32 v30, v33
	ds_read2st64_b32 v[44:45], v32 offset0:12 offset1:14
	ds_read2st64_b32 v[50:51], v32 offset0:16 offset1:18
	ds_read_b32 v56, v34
	ds_read_b32 v134, v35
	;; [unrolled: 1-line block ×3, first 2 shown]
	ds_read2st64_b32 v[52:53], v32 offset0:8 offset1:10
	ds_read2st64_b32 v[54:55], v32 offset0:20 offset1:22
	;; [unrolled: 1-line block ×12, first 2 shown]
	v_lshlrev_b32_e32 v0, 4, v0
	s_waitcnt vmcnt(0) lgkmcnt(0)
	s_barrier
	buffer_gl0_inv
	v_lshl_add_u32 v128, v128, 2, v3
	v_and_or_b32 v0, 0x780, v0, v4
	v_lshl_add_u32 v127, v127, 2, v3
	v_lshl_add_u32 v125, v125, 2, v3
	;; [unrolled: 1-line block ×22, first 2 shown]
	v_mul_f32_e32 v170, v164, v7
	v_mul_f32_e32 v168, v44, v11
	;; [unrolled: 1-line block ×11, first 2 shown]
	v_fmac_f32_e32 v11, v45, v10
	v_fma_f32 v45, v58, v14, -v179
	v_mul_f32_e32 v58, v64, v19
	v_mul_f32_e32 v19, v66, v19
	;; [unrolled: 1-line block ×8, first 2 shown]
	v_fmac_f32_e32 v170, v30, v6
	v_fma_f32 v30, v65, v18, -v182
	v_fmac_f32_e32 v184, v63, v18
	v_fma_f32 v58, v66, v18, -v58
	v_fmac_f32_e32 v19, v64, v18
	v_mul_f32_e32 v18, v131, v21
	v_mul_f32_e32 v21, v136, v21
	;; [unrolled: 1-line block ×11, first 2 shown]
	v_fma_f32 v46, v46, v10, -v168
	v_fma_f32 v47, v47, v10, -v169
	v_fmac_f32_e32 v171, v44, v10
	v_fma_f32 v10, v48, v12, -v172
	v_fma_f32 v44, v49, v12, -v173
	;; [unrolled: 1-line block ×4, first 2 shown]
	v_fmac_f32_e32 v186, v130, v20
	v_fma_f32 v18, v136, v20, -v18
	v_mul_f32_e32 v62, v133, v23
	v_mul_f32_e32 v23, v138, v23
	v_fmac_f32_e32 v21, v131, v20
	v_mul_f32_e32 v20, v152, v25
	v_mul_f32_e32 v25, v140, v25
	;; [unrolled: 1-line block ×8, first 2 shown]
	v_fmac_f32_e32 v174, v50, v12
	v_fmac_f32_e32 v13, v51, v12
	;; [unrolled: 1-line block ×3, first 2 shown]
	v_fma_f32 v50, v137, v22, -v187
	v_fmac_f32_e32 v188, v132, v22
	v_fma_f32 v51, v139, v24, -v190
	v_fmac_f32_e32 v191, v151, v24
	v_mul_f32_e32 v54, v134, v7
	v_mul_f32_e32 v7, v165, v7
	v_fma_f32 v62, v138, v22, -v62
	v_fmac_f32_e32 v23, v133, v22
	v_mul_f32_e32 v22, v154, v27
	v_fma_f32 v20, v140, v24, -v20
	v_fmac_f32_e32 v25, v152, v24
	v_mul_f32_e32 v24, v142, v27
	v_mul_f32_e32 v27, v156, v29
	;; [unrolled: 1-line block ×3, first 2 shown]
	v_fma_f32 v12, v57, v14, -v177
	v_fmac_f32_e32 v15, v55, v14
	v_fma_f32 v14, v61, v16, -v180
	v_fmac_f32_e32 v181, v59, v16
	v_fmac_f32_e32 v17, v60, v16
	v_fma_f32 v16, v42, v8, -v175
	v_fma_f32 v42, v43, v8, -v189
	;; [unrolled: 1-line block ×3, first 2 shown]
	v_fmac_f32_e32 v176, v52, v8
	v_fma_f32 v52, v141, v26, -v192
	v_fmac_f32_e32 v193, v153, v26
	v_fmac_f32_e32 v9, v53, v8
	v_mul_f32_e32 v53, v143, v29
	v_fma_f32 v54, v165, v6, -v54
	v_mul_f32_e32 v55, v157, v37
	v_fmac_f32_e32 v7, v134, v6
	v_mul_f32_e32 v6, v145, v37
	v_mul_f32_e32 v57, v159, v39
	v_mul_f32_e32 v59, v147, v39
	v_fma_f32 v22, v142, v26, -v22
	v_mul_f32_e32 v29, v144, v29
	v_mul_f32_e32 v63, v158, v37
	v_fmac_f32_e32 v24, v154, v26
	v_fma_f32 v26, v144, v28, -v27
	v_mul_f32_e32 v27, v146, v37
	v_fma_f32 v8, v143, v28, -v194
	v_fmac_f32_e32 v53, v155, v28
	v_fma_f32 v55, v145, v36, -v55
	v_fmac_f32_e32 v6, v157, v36
	v_fma_f32 v57, v147, v38, -v57
	v_mul_f32_e32 v60, v161, v41
	v_mul_f32_e32 v61, v149, v41
	v_fmac_f32_e32 v59, v159, v38
	v_fmac_f32_e32 v29, v156, v28
	v_fma_f32 v28, v146, v36, -v63
	v_mul_f32_e32 v37, v160, v39
	v_mul_f32_e32 v39, v148, v39
	v_fmac_f32_e32 v27, v158, v36
	v_mul_f32_e32 v36, v162, v41
	v_mul_f32_e32 v41, v150, v41
	v_fma_f32 v60, v149, v40, -v60
	v_fmac_f32_e32 v61, v161, v40
	v_fma_f32 v37, v148, v38, -v37
	v_fmac_f32_e32 v39, v160, v38
	v_sub_f32_e32 v38, v163, v49
	v_fma_f32 v36, v150, v40, -v36
	v_fmac_f32_e32 v41, v162, v40
	v_sub_f32_e32 v40, v166, v186
	v_sub_f32_e32 v8, v10, v8
	v_sub_f32_e32 v53, v174, v53
	v_sub_f32_e32 v51, v16, v51
	v_sub_f32_e32 v64, v176, v191
	v_sub_f32_e32 v57, v14, v57
	v_sub_f32_e32 v59, v181, v59
	v_fma_f32 v10, v10, 2.0, -v8
	v_fma_f32 v65, v174, 2.0, -v53
	v_sub_f32_e32 v130, v170, v188
	v_fma_f32 v14, v14, 2.0, -v57
	v_fma_f32 v131, v181, 2.0, -v59
	v_sub_f32_e32 v6, v178, v6
	v_sub_f32_e32 v133, v171, v193
	;; [unrolled: 1-line block ×4, first 2 shown]
	v_add_f32_e32 v8, v40, v8
	v_sub_f32_e32 v59, v51, v59
	v_add_f32_e32 v57, v64, v57
	v_fma_f32 v49, v163, 2.0, -v38
	v_fma_f32 v63, v166, 2.0, -v40
	;; [unrolled: 1-line block ×4, first 2 shown]
	v_sub_f32_e32 v50, v43, v50
	v_sub_f32_e32 v55, v12, v55
	v_fma_f32 v132, v170, 2.0, -v130
	v_sub_f32_e32 v52, v46, v52
	v_sub_f32_e32 v60, v30, v60
	v_fma_f32 v134, v178, 2.0, -v6
	v_fma_f32 v135, v171, 2.0, -v133
	;; [unrolled: 1-line block ×9, first 2 shown]
	v_sub_f32_e32 v65, v63, v65
	v_sub_f32_e32 v14, v16, v14
	;; [unrolled: 1-line block ×4, first 2 shown]
	v_add_f32_e32 v55, v130, v55
	v_sub_f32_e32 v136, v135, v136
	v_sub_f32_e32 v61, v52, v61
	v_add_f32_e32 v60, v133, v60
	v_fmamk_f32 v137, v51, 0xbf3504f3, v38
	v_fmamk_f32 v138, v64, 0xbf3504f3, v40
	v_fma_f32 v43, v43, 2.0, -v50
	v_fma_f32 v46, v46, 2.0, -v52
	v_sub_f32_e32 v131, v66, v131
	v_fma_f32 v16, v16, 2.0, -v14
	v_fma_f32 v132, v132, 2.0, -v134
	;; [unrolled: 1-line block ×6, first 2 shown]
	v_fmac_f32_e32 v137, 0xbf3504f3, v64
	v_fma_f32 v64, v133, 2.0, -v60
	v_fmac_f32_e32 v138, 0x3f3504f3, v51
	v_fmamk_f32 v51, v59, 0x3f3504f3, v53
	v_add_f32_e32 v14, v65, v14
	v_fmamk_f32 v133, v57, 0x3f3504f3, v8
	v_fma_f32 v63, v63, 2.0, -v65
	v_fma_f32 v66, v66, 2.0, -v131
	v_fmac_f32_e32 v51, 0xbf3504f3, v57
	v_fma_f32 v57, v65, 2.0, -v14
	v_fmac_f32_e32 v133, 0x3f3504f3, v59
	v_fmamk_f32 v59, v52, 0xbf3504f3, v50
	v_sub_f32_e32 v65, v132, v135
	v_fmamk_f32 v135, v64, 0xbf3504f3, v130
	v_sub_f32_e32 v10, v49, v10
	v_sub_f32_e32 v12, v43, v12
	;; [unrolled: 1-line block ×4, first 2 shown]
	v_fmac_f32_e32 v59, 0xbf3504f3, v64
	v_fmac_f32_e32 v135, 0x3f3504f3, v52
	v_fmamk_f32 v52, v61, 0x3f3504f3, v6
	v_fma_f32 v46, v46, 2.0, -v30
	v_fma_f32 v63, v63, 2.0, -v66
	;; [unrolled: 1-line block ×3, first 2 shown]
	v_sub_f32_e32 v131, v10, v131
	v_fma_f32 v40, v40, 2.0, -v138
	v_fma_f32 v64, v132, 2.0, -v65
	;; [unrolled: 1-line block ×3, first 2 shown]
	v_sub_f32_e32 v132, v12, v136
	v_add_f32_e32 v30, v134, v30
	v_fmamk_f32 v136, v60, 0x3f3504f3, v55
	v_fma_f32 v130, v130, 2.0, -v135
	v_fmac_f32_e32 v52, 0xbf3504f3, v60
	v_fma_f32 v49, v49, 2.0, -v10
	v_fma_f32 v43, v43, 2.0, -v12
	;; [unrolled: 1-line block ×6, first 2 shown]
	v_fmac_f32_e32 v136, 0x3f3504f3, v61
	v_fma_f32 v6, v6, 2.0, -v52
	v_sub_f32_e32 v61, v63, v64
	v_fmamk_f32 v64, v50, 0xbf6c835e, v38
	v_fmamk_f32 v134, v130, 0xbf6c835e, v40
	v_fma_f32 v8, v8, 2.0, -v133
	v_fma_f32 v55, v55, 2.0, -v136
	v_sub_f32_e32 v16, v49, v16
	v_fmac_f32_e32 v64, 0xbec3ef15, v130
	v_fmamk_f32 v130, v12, 0xbf3504f3, v10
	v_fmac_f32_e32 v134, 0x3ec3ef15, v50
	v_fmamk_f32 v50, v6, 0xbec3ef15, v53
	v_fmamk_f32 v139, v60, 0xbf3504f3, v57
	v_fma_f32 v49, v49, 2.0, -v16
	v_fmac_f32_e32 v130, 0xbf3504f3, v60
	v_fmamk_f32 v60, v55, 0xbec3ef15, v8
	v_fmac_f32_e32 v50, 0xbf6c835e, v55
	v_fmac_f32_e32 v139, 0x3f3504f3, v12
	v_sub_f32_e32 v12, v16, v65
	v_fma_f32 v55, v40, 2.0, -v134
	v_fmac_f32_e32 v60, 0x3f6c835e, v6
	v_fma_f32 v6, v53, 2.0, -v50
	v_fmamk_f32 v53, v135, 0x3ec3ef15, v138
	v_fmamk_f32 v40, v59, 0x3ec3ef15, v137
	;; [unrolled: 1-line block ×3, first 2 shown]
	v_fma_f32 v65, v8, 2.0, -v60
	v_fma_f32 v8, v16, 2.0, -v12
	v_fmac_f32_e32 v53, 0x3f6c835e, v59
	v_fmamk_f32 v16, v132, 0x3f3504f3, v131
	v_fmamk_f32 v59, v30, 0x3f3504f3, v14
	v_fmac_f32_e32 v40, 0xbf6c835e, v135
	v_sub_f32_e32 v21, v56, v21
	v_sub_f32_e32 v29, v13, v29
	v_fmac_f32_e32 v16, 0xbf3504f3, v30
	v_fmac_f32_e32 v59, 0x3f3504f3, v132
	v_sub_f32_e32 v25, v9, v25
	v_sub_f32_e32 v39, v17, v39
	v_fma_f32 v135, v137, 2.0, -v40
	v_fmamk_f32 v137, v52, 0x3f6c835e, v51
	v_fmac_f32_e32 v140, 0x3ec3ef15, v52
	v_fma_f32 v52, v131, 2.0, -v16
	v_fma_f32 v131, v14, 2.0, -v59
	v_sub_f32_e32 v14, v5, v18
	v_sub_f32_e32 v20, v42, v20
	v_fma_f32 v56, v56, 2.0, -v21
	v_fma_f32 v13, v13, 2.0, -v29
	v_fma_f32 v9, v9, 2.0, -v25
	v_fma_f32 v17, v17, 2.0, -v39
	v_sub_f32_e32 v26, v44, v26
	v_sub_f32_e32 v37, v48, v37
	;; [unrolled: 1-line block ×6, first 2 shown]
	v_fma_f32 v5, v5, 2.0, -v14
	v_fma_f32 v44, v44, 2.0, -v26
	;; [unrolled: 1-line block ×3, first 2 shown]
	v_sub_f32_e32 v62, v54, v62
	v_fma_f32 v48, v48, 2.0, -v37
	v_sub_f32_e32 v28, v45, v28
	v_sub_f32_e32 v27, v15, v27
	;; [unrolled: 1-line block ×5, first 2 shown]
	v_add_f32_e32 v26, v21, v26
	v_fma_f32 v56, v56, 2.0, -v13
	v_fma_f32 v14, v14, 2.0, -v29
	v_add_f32_e32 v37, v25, v37
	v_fma_f32 v9, v9, 2.0, -v17
	v_fma_f32 v20, v20, 2.0, -v39
	v_fmac_f32_e32 v137, 0xbec3ef15, v136
	v_sub_f32_e32 v23, v7, v23
	v_fma_f32 v54, v54, 2.0, -v62
	v_fma_f32 v45, v45, 2.0, -v28
	v_sub_f32_e32 v24, v11, v24
	v_fma_f32 v15, v15, 2.0, -v27
	v_fma_f32 v47, v47, 2.0, -v22
	;; [unrolled: 1-line block ×6, first 2 shown]
	v_sub_f32_e32 v27, v62, v27
	v_sub_f32_e32 v41, v22, v41
	v_fmamk_f32 v132, v20, 0xbf3504f3, v14
	v_sub_f32_e32 v9, v56, v9
	v_fma_f32 v18, v51, 2.0, -v137
	v_fma_f32 v51, v133, 2.0, -v140
	;; [unrolled: 1-line block ×3, first 2 shown]
	v_sub_f32_e32 v44, v5, v44
	v_sub_f32_e32 v45, v54, v45
	v_add_f32_e32 v28, v23, v28
	v_sub_f32_e32 v58, v47, v58
	v_fma_f32 v62, v62, 2.0, -v27
	v_add_f32_e32 v36, v24, v36
	v_fma_f32 v22, v22, 2.0, -v41
	v_fmamk_f32 v133, v25, 0xbf3504f3, v21
	v_fmac_f32_e32 v132, 0xbf3504f3, v25
	v_fma_f32 v25, v56, 2.0, -v9
	v_fmamk_f32 v56, v37, 0x3f3504f3, v26
	v_fma_f32 v11, v11, 2.0, -v24
	v_sub_f32_e32 v48, v42, v48
	v_sub_f32_e32 v15, v7, v15
	v_fma_f32 v54, v54, 2.0, -v45
	v_fma_f32 v23, v23, 2.0, -v28
	;; [unrolled: 1-line block ×4, first 2 shown]
	v_fmac_f32_e32 v133, 0x3f3504f3, v20
	v_fmamk_f32 v20, v39, 0x3f3504f3, v29
	v_sub_f32_e32 v17, v44, v17
	v_fmac_f32_e32 v56, 0x3f3504f3, v39
	v_fmamk_f32 v39, v22, 0xbf3504f3, v62
	v_fma_f32 v5, v5, 2.0, -v44
	v_fma_f32 v42, v42, 2.0, -v48
	v_sub_f32_e32 v19, v11, v19
	v_add_f32_e32 v48, v13, v48
	v_fmac_f32_e32 v20, 0xbf3504f3, v37
	v_fma_f32 v37, v44, 2.0, -v17
	v_sub_f32_e32 v44, v54, v47
	v_fmamk_f32 v47, v24, 0xbf3504f3, v23
	v_fmac_f32_e32 v39, 0xbf3504f3, v24
	v_add_f32_e32 v58, v15, v58
	v_fma_f32 v7, v7, 2.0, -v15
	v_fma_f32 v11, v11, 2.0, -v19
	;; [unrolled: 1-line block ×5, first 2 shown]
	v_fmac_f32_e32 v47, 0x3f3504f3, v22
	v_fma_f32 v22, v62, 2.0, -v39
	v_fmamk_f32 v54, v41, 0x3f3504f3, v27
	v_sub_f32_e32 v19, v45, v19
	v_fmamk_f32 v62, v36, 0x3f3504f3, v28
	v_fma_f32 v15, v15, 2.0, -v58
	v_fma_f32 v30, v138, 2.0, -v53
	v_fmac_f32_e32 v54, 0xbf3504f3, v36
	v_fma_f32 v36, v45, 2.0, -v19
	v_fmac_f32_e32 v62, 0x3f3504f3, v41
	v_fmamk_f32 v138, v15, 0xbf3504f3, v13
	v_fma_f32 v21, v21, 2.0, -v133
	v_fma_f32 v23, v23, 2.0, -v47
	v_sub_f32_e32 v42, v5, v42
	v_fma_f32 v28, v28, 2.0, -v62
	v_fmac_f32_e32 v138, 0x3f3504f3, v36
	v_fma_f32 v14, v14, 2.0, -v132
	v_fma_f32 v29, v29, 2.0, -v20
	v_sub_f32_e32 v11, v7, v11
	v_fma_f32 v27, v27, 2.0, -v54
	v_fmamk_f32 v45, v23, 0xbf6c835e, v21
	v_fmamk_f32 v141, v28, 0xbec3ef15, v24
	v_fma_f32 v143, v13, 2.0, -v138
	v_fmamk_f32 v13, v39, 0x3ec3ef15, v132
	v_fmamk_f32 v144, v47, 0x3ec3ef15, v133
	v_fma_f32 v7, v7, 2.0, -v11
	v_fmamk_f32 v41, v22, 0xbf6c835e, v14
	v_fmac_f32_e32 v45, 0x3ec3ef15, v22
	v_fmamk_f32 v22, v27, 0xbec3ef15, v29
	v_fmac_f32_e32 v141, 0x3f6c835e, v27
	v_sub_f32_e32 v11, v42, v11
	v_add_f32_e32 v44, v9, v44
	v_fmac_f32_e32 v13, 0xbf6c835e, v47
	v_fmac_f32_e32 v144, 0x3f6c835e, v39
	v_fmamk_f32 v27, v54, 0x3f6c835e, v20
	v_sub_f32_e32 v46, v43, v46
	v_fma_f32 v5, v5, 2.0, -v42
	v_sub_f32_e32 v7, v25, v7
	v_fma_f32 v47, v24, 2.0, -v141
	v_fma_f32 v24, v42, 2.0, -v11
	;; [unrolled: 1-line block ×5, first 2 shown]
	v_fmamk_f32 v133, v58, 0x3f3504f3, v48
	v_fmac_f32_e32 v27, 0xbec3ef15, v62
	v_fma_f32 v43, v43, 2.0, -v46
	v_fmac_f32_e32 v41, 0xbec3ef15, v23
	v_fma_f32 v136, v25, 2.0, -v7
	v_fmamk_f32 v23, v36, 0xbf3504f3, v37
	v_fmamk_f32 v25, v19, 0x3f3504f3, v17
	v_fmac_f32_e32 v133, 0x3f3504f3, v19
	v_fma_f32 v19, v20, 2.0, -v27
	v_lshlrev_b32_e32 v20, 4, v99
	v_sub_f32_e32 v43, v49, v43
	v_add_f32_e32 v46, v66, v46
	v_sub_f32_e32 v26, v5, v26
	v_fmac_f32_e32 v23, 0xbf3504f3, v15
	v_fmac_f32_e32 v22, 0xbf6c835e, v28
	;; [unrolled: 1-line block ×3, first 2 shown]
	v_and_or_b32 v4, 0xf80, v20, v4
	v_fma_f32 v49, v49, 2.0, -v43
	v_fma_f32 v63, v63, 2.0, -v61
	;; [unrolled: 1-line block ×3, first 2 shown]
	v_fmamk_f32 v145, v62, 0x3f6c835e, v56
	v_fma_f32 v10, v10, 2.0, -v130
	v_fma_f32 v57, v57, 2.0, -v139
	v_fma_f32 v66, v66, 2.0, -v46
	v_fma_f32 v5, v5, 2.0, -v26
	v_fma_f32 v14, v14, 2.0, -v41
	v_fma_f32 v142, v21, 2.0, -v45
	v_fma_f32 v15, v37, 2.0, -v23
	v_fma_f32 v21, v29, 2.0, -v22
	v_fma_f32 v17, v17, 2.0, -v25
	v_lshl_add_u32 v4, v4, 2, v3
	v_fmac_f32_e32 v145, 0x3ec3ef15, v54
	ds_write2_b32 v0, v49, v38 offset1:8
	ds_write2_b32 v0, v10, v6 offset0:16 offset1:24
	ds_write2_b32 v0, v8, v135 offset0:32 offset1:40
	;; [unrolled: 1-line block ×7, first 2 shown]
	ds_write2_b32 v4, v5, v14 offset1:8
	ds_write2_b32 v4, v15, v21 offset0:16 offset1:24
	ds_write2_b32 v4, v24, v9 offset0:32 offset1:40
	;; [unrolled: 1-line block ×7, first 2 shown]
	s_waitcnt lgkmcnt(0)
	s_barrier
	buffer_gl0_inv
	ds_read_b32 v137, v31
	ds_read2st64_b32 v[8:9], v32 offset0:16 offset1:18
	ds_read2st64_b32 v[10:11], v32 offset0:32 offset1:34
	;; [unrolled: 1-line block ×3, first 2 shown]
	ds_read_b32 v146, v35
	ds_read_b32 v147, v34
	;; [unrolled: 1-line block ×3, first 2 shown]
	ds_read2st64_b32 v[14:15], v32 offset0:20 offset1:22
	ds_read2st64_b32 v[16:17], v32 offset0:36 offset1:38
	;; [unrolled: 1-line block ×11, first 2 shown]
	s_waitcnt lgkmcnt(0)
	s_barrier
	buffer_gl0_inv
	ds_write2_b32 v0, v63, v55 offset1:8
	ds_write2_b32 v0, v57, v65 offset0:16 offset1:24
	ds_write2_b32 v0, v66, v30 offset0:32 offset1:40
	;; [unrolled: 1-line block ×7, first 2 shown]
	ds_write2_b32 v4, v136, v142 offset1:8
	ds_write2_b32 v4, v143, v47 offset0:16 offset1:24
	ds_write2_b32 v4, v42, v132 offset0:32 offset1:40
	v_mul_u32_u24_e32 v0, 3, v95
	v_fma_f32 v48, v48, 2.0, -v133
	v_fma_f32 v54, v56, 2.0, -v145
	ds_write2_b32 v4, v48, v54 offset0:48 offset1:56
	ds_write2_b32 v4, v7, v45 offset0:64 offset1:72
	;; [unrolled: 1-line block ×4, first 2 shown]
	v_lshlrev_b32_e32 v0, 3, v0
	ds_write2_b32 v4, v133, v145 offset0:112 offset1:120
	s_waitcnt lgkmcnt(0)
	s_barrier
	buffer_gl0_inv
	s_clause 0x1
	global_load_dwordx4 v[4:7], v0, s[8:9] offset:960
	global_load_dwordx2 v[42:43], v0, s[8:9] offset:976
	ds_read2st64_b32 v[44:45], v32 offset0:16 offset1:18
	ds_read2st64_b32 v[46:47], v32 offset0:32 offset1:34
	ds_read_b32 v0, v31
	ds_read2st64_b32 v[48:49], v32 offset0:48 offset1:50
	ds_read_b32 v30, v35
	ds_read_b32 v66, v34
	;; [unrolled: 1-line block ×3, first 2 shown]
	ds_read2st64_b32 v[50:51], v32 offset0:20 offset1:22
	ds_read2st64_b32 v[52:53], v32 offset0:36 offset1:38
	;; [unrolled: 1-line block ×11, first 2 shown]
	s_waitcnt vmcnt(0) lgkmcnt(0)
	s_barrier
	buffer_gl0_inv
	v_mul_f32_e32 v138, v44, v5
	v_mul_f32_e32 v140, v46, v7
	;; [unrolled: 1-line block ×5, first 2 shown]
	v_fma_f32 v8, v8, v4, -v138
	v_fma_f32 v10, v10, v6, -v140
	v_fmac_f32_e32 v141, v46, v6
	v_mul_f32_e32 v46, v12, v43
	v_mul_f32_e32 v138, v45, v5
	;; [unrolled: 1-line block ×3, first 2 shown]
	v_fmac_f32_e32 v139, v44, v4
	v_mul_f32_e32 v44, v48, v43
	v_fmac_f32_e32 v46, v48, v42
	v_fma_f32 v9, v9, v4, -v138
	v_fmac_f32_e32 v140, v45, v4
	v_mul_f32_e32 v45, v49, v43
	v_mul_f32_e32 v48, v13, v43
	;; [unrolled: 1-line block ×3, first 2 shown]
	v_fma_f32 v12, v12, v42, -v44
	v_fma_f32 v44, v11, v6, -v142
	v_mul_f32_e32 v11, v11, v7
	v_mul_f32_e32 v142, v14, v5
	v_fma_f32 v13, v13, v42, -v45
	v_fmac_f32_e32 v48, v49, v42
	v_fma_f32 v14, v14, v4, -v138
	v_mul_f32_e32 v45, v52, v7
	v_mul_f32_e32 v49, v54, v43
	;; [unrolled: 1-line block ×3, first 2 shown]
	v_fmac_f32_e32 v11, v47, v6
	v_fmac_f32_e32 v142, v50, v4
	v_mul_f32_e32 v47, v16, v7
	v_mul_f32_e32 v50, v18, v43
	v_fma_f32 v16, v16, v6, -v45
	v_fma_f32 v18, v18, v42, -v49
	v_fma_f32 v45, v15, v4, -v138
	v_mul_f32_e32 v49, v53, v7
	v_mul_f32_e32 v138, v19, v43
	v_fmac_f32_e32 v47, v52, v6
	v_fmac_f32_e32 v50, v54, v42
	v_mul_f32_e32 v15, v15, v5
	v_mul_f32_e32 v52, v17, v7
	;; [unrolled: 1-line block ×3, first 2 shown]
	v_fma_f32 v17, v17, v6, -v49
	v_fmac_f32_e32 v138, v55, v42
	v_mul_f32_e32 v49, v58, v5
	v_mul_f32_e32 v55, v62, v43
	v_fmac_f32_e32 v15, v51, v4
	v_fmac_f32_e32 v52, v53, v6
	v_fma_f32 v19, v19, v42, -v54
	v_mul_f32_e32 v51, v22, v5
	v_mul_f32_e32 v53, v60, v7
	;; [unrolled: 1-line block ×3, first 2 shown]
	v_fma_f32 v22, v22, v4, -v49
	v_fma_f32 v49, v26, v42, -v55
	v_mul_f32_e32 v55, v23, v5
	v_fmac_f32_e32 v51, v58, v4
	v_fma_f32 v24, v24, v6, -v53
	v_fmac_f32_e32 v54, v60, v6
	v_mul_f32_e32 v26, v26, v43
	v_mul_f32_e32 v53, v59, v5
	;; [unrolled: 1-line block ×4, first 2 shown]
	v_fmac_f32_e32 v55, v59, v4
	v_mul_f32_e32 v59, v130, v5
	v_fmac_f32_e32 v26, v62, v42
	v_fma_f32 v23, v23, v4, -v53
	v_fma_f32 v25, v25, v6, -v58
	v_fmac_f32_e32 v60, v61, v6
	v_mul_f32_e32 v53, v63, v43
	v_mul_f32_e32 v58, v27, v43
	;; [unrolled: 1-line block ×4, first 2 shown]
	v_fma_f32 v36, v36, v4, -v59
	v_mul_f32_e32 v59, v134, v43
	v_fma_f32 v27, v27, v42, -v53
	v_fmac_f32_e32 v58, v63, v42
	v_fma_f32 v53, v38, v6, -v62
	v_mul_f32_e32 v62, v40, v43
	v_mul_f32_e32 v63, v131, v5
	;; [unrolled: 1-line block ×3, first 2 shown]
	v_fma_f32 v40, v40, v42, -v59
	v_sub_f32_e32 v59, v0, v141
	v_sub_f32_e32 v46, v139, v46
	v_fmac_f32_e32 v61, v130, v4
	v_fma_f32 v37, v37, v4, -v63
	v_fmac_f32_e32 v5, v131, v4
	v_mul_f32_e32 v4, v133, v7
	v_fma_f32 v0, v0, 2.0, -v59
	v_fma_f32 v130, v139, 2.0, -v46
	v_mul_f32_e32 v38, v38, v7
	v_sub_f32_e32 v12, v8, v12
	v_fma_f32 v4, v39, v6, -v4
	v_mul_f32_e32 v7, v39, v7
	v_mul_f32_e32 v39, v135, v43
	v_sub_f32_e32 v130, v0, v130
	v_fmac_f32_e32 v38, v132, v6
	v_sub_f32_e32 v10, v137, v10
	v_mul_f32_e32 v43, v41, v43
	v_fmac_f32_e32 v7, v133, v6
	v_fma_f32 v6, v41, v42, -v39
	v_fma_f32 v41, v0, 2.0, -v130
	v_sub_f32_e32 v0, v147, v44
	v_add_f32_e32 v44, v59, v12
	v_sub_f32_e32 v11, v66, v11
	v_sub_f32_e32 v16, v148, v16
	;; [unrolled: 1-line block ×5, first 2 shown]
	v_fmac_f32_e32 v62, v134, v42
	v_fmac_f32_e32 v43, v135, v42
	v_sub_f32_e32 v42, v10, v46
	v_sub_f32_e32 v13, v9, v13
	;; [unrolled: 1-line block ×3, first 2 shown]
	v_fma_f32 v48, v59, 2.0, -v44
	v_fma_f32 v59, v66, 2.0, -v11
	;; [unrolled: 1-line block ×7, first 2 shown]
	v_add_f32_e32 v133, v11, v13
	v_sub_f32_e32 v19, v45, v19
	v_sub_f32_e32 v13, v66, v14
	;; [unrolled: 1-line block ×4, first 2 shown]
	v_fma_f32 v134, v11, 2.0, -v133
	v_sub_f32_e32 v17, v16, v50
	v_fma_f32 v11, v66, 2.0, -v13
	v_fma_f32 v66, v131, 2.0, -v132
	v_add_f32_e32 v50, v47, v18
	v_sub_f32_e32 v18, v30, v52
	v_sub_f32_e32 v131, v15, v138
	;; [unrolled: 1-line block ×5, first 2 shown]
	v_fma_f32 v30, v30, 2.0, -v18
	v_fma_f32 v15, v15, 2.0, -v131
	v_sub_f32_e32 v26, v51, v26
	v_fma_f32 v63, v137, 2.0, -v10
	v_fma_f32 v22, v22, 2.0, -v49
	;; [unrolled: 1-line block ×3, first 2 shown]
	v_sub_f32_e32 v135, v30, v15
	v_fma_f32 v15, v20, 2.0, -v24
	v_fma_f32 v20, v56, 2.0, -v54
	;; [unrolled: 1-line block ×3, first 2 shown]
	v_sub_f32_e32 v56, v14, v131
	v_add_f32_e32 v131, v18, v19
	v_sub_f32_e32 v19, v15, v22
	v_sub_f32_e32 v22, v24, v26
	;; [unrolled: 1-line block ×4, first 2 shown]
	v_fma_f32 v137, v18, 2.0, -v131
	v_sub_f32_e32 v18, v21, v25
	v_sub_f32_e32 v25, v57, v60
	v_fma_f32 v8, v8, 2.0, -v12
	v_fma_f32 v136, v30, 2.0, -v135
	;; [unrolled: 1-line block ×3, first 2 shown]
	v_sub_f32_e32 v20, v23, v27
	v_fma_f32 v27, v57, 2.0, -v25
	v_fma_f32 v30, v55, 2.0, -v26
	v_sub_f32_e32 v8, v63, v8
	v_fma_f32 v12, v147, 2.0, -v0
	v_sub_f32_e32 v53, v28, v53
	v_sub_f32_e32 v38, v64, v38
	;; [unrolled: 1-line block ×4, first 2 shown]
	v_fma_f32 v39, v63, 2.0, -v8
	v_sub_f32_e32 v9, v12, v9
	v_fma_f32 v28, v28, 2.0, -v53
	v_sub_f32_e32 v40, v61, v62
	v_fma_f32 v36, v36, 2.0, -v30
	v_fma_f32 v10, v10, 2.0, -v42
	v_fma_f32 v63, v140, 2.0, -v46
	v_sub_f32_e32 v46, v0, v46
	v_fma_f32 v52, v146, 2.0, -v14
	v_sub_f32_e32 v4, v29, v4
	v_sub_f32_e32 v6, v37, v6
	v_fma_f32 v12, v12, 2.0, -v9
	v_fma_f32 v23, v23, 2.0, -v20
	v_add_f32_e32 v57, v25, v20
	v_fma_f32 v20, v64, 2.0, -v38
	v_fma_f32 v58, v61, 2.0, -v40
	v_sub_f32_e32 v36, v28, v36
	v_fma_f32 v60, v27, 2.0, -v55
	v_sub_f32_e32 v7, v65, v7
	v_sub_f32_e32 v27, v5, v43
	ds_write_b32 v32, v39
	ds_write_b32 v34, v10
	v_lshl_add_u32 v39, v129, 2, v3
	v_fma_f32 v0, v0, 2.0, -v46
	v_sub_f32_e32 v45, v52, v45
	ds_write_b32 v33, v8
	ds_write_b32 v35, v42
	;; [unrolled: 1-line block ×5, first 2 shown]
	v_lshl_add_u32 v42, v126, 2, v3
	v_fma_f32 v29, v29, 2.0, -v4
	v_fma_f32 v37, v37, 2.0, -v6
	;; [unrolled: 1-line block ×4, first 2 shown]
	v_sub_f32_e32 v58, v20, v58
	v_fma_f32 v25, v28, 2.0, -v36
	v_sub_f32_e32 v28, v53, v40
	v_fma_f32 v40, v65, 2.0, -v7
	v_fma_f32 v5, v5, 2.0, -v27
	;; [unrolled: 1-line block ×4, first 2 shown]
	ds_write_b32 v42, v46
	ds_write_b32 v125, v11
	;; [unrolled: 1-line block ×5, first 2 shown]
	v_lshl_add_u32 v46, v121, 2, v3
	v_fma_f32 v14, v14, 2.0, -v56
	v_add_f32_e32 v62, v38, v30
	v_sub_f32_e32 v30, v29, v37
	v_fma_f32 v43, v20, 2.0, -v58
	v_fma_f32 v20, v53, 2.0, -v28
	v_sub_f32_e32 v53, v40, v5
	v_sub_f32_e32 v5, v4, v27
	;; [unrolled: 1-line block ×3, first 2 shown]
	v_fma_f32 v15, v15, 2.0, -v19
	v_sub_f32_e32 v26, v18, v26
	v_fma_f32 v24, v24, 2.0, -v22
	v_add_f32_e32 v64, v7, v6
	ds_write_b32 v46, v52
	ds_write_b32 v120, v14
	ds_write_b32 v119, v45
	ds_write_b32 v118, v56
	ds_write_b32 v117, v15
	v_lshl_add_u32 v45, v116, 2, v3
	v_fma_f32 v6, v29, 2.0, -v30
	v_lshl_add_u32 v52, v115, 2, v3
	v_fma_f32 v4, v4, 2.0, -v5
	;; [unrolled: 2-line block ×3, first 2 shown]
	v_fma_f32 v18, v18, 2.0, -v26
	v_fma_f32 v65, v38, 2.0, -v62
	;; [unrolled: 1-line block ×3, first 2 shown]
	ds_write_b32 v45, v24
	ds_write_b32 v52, v19
	ds_write_b32 v56, v22
	ds_write_b32 v113, v21
	ds_write_b32 v112, v18
	ds_write_b32 v111, v23
	ds_write_b32 v110, v26
	ds_write_b32 v109, v25
	ds_write_b32 v108, v20
	ds_write_b32 v107, v36
	ds_write_b32 v106, v28
	ds_write_b32 v105, v6
	ds_write_b32 v104, v4
	ds_write_b32 v103, v30
	ds_write_b32 v102, v5
	s_waitcnt lgkmcnt(0)
	s_barrier
	buffer_gl0_inv
	ds_read_b32 v37, v31
	ds_read2st64_b32 v[5:6], v32 offset0:8 offset1:10
	ds_read2st64_b32 v[3:4], v32 offset0:16 offset1:18
	;; [unrolled: 1-line block ×7, first 2 shown]
	ds_read_b32 v38, v35
	ds_read_b32 v0, v34
	;; [unrolled: 1-line block ×3, first 2 shown]
	ds_read2st64_b32 v[19:20], v32 offset0:12 offset1:14
	ds_read2st64_b32 v[17:18], v32 offset0:20 offset1:22
	;; [unrolled: 1-line block ×7, first 2 shown]
	v_sub_f32_e32 v63, v59, v63
	v_add_f32_e32 v49, v54, v49
	v_fma_f32 v47, v47, 2.0, -v50
	v_fma_f32 v40, v40, 2.0, -v53
	s_waitcnt lgkmcnt(0)
	v_fma_f32 v59, v59, 2.0, -v63
	v_fma_f32 v54, v54, 2.0, -v49
	s_barrier
	buffer_gl0_inv
	ds_write_b32 v32, v41
	ds_write_b32 v34, v48
	;; [unrolled: 1-line block ×32, first 2 shown]
	s_waitcnt lgkmcnt(0)
	s_barrier
	buffer_gl0_inv
	s_and_saveexec_b32 s0, vcc_lo
	s_cbranch_execz .LBB0_10
; %bb.9:
	v_mul_u32_u24_e32 v39, 7, v95
	v_mul_i32_i24_e32 v108, 7, v101
	v_mov_b32_e32 v109, 0
	v_lshlrev_b32_e32 v39, 3, v39
	v_add_co_u32 v41, s0, s8, v39
	v_add_co_ci_u32_e64 v42, null, s9, 0, s0
	v_lshlrev_b64 v[39:40], 3, v[108:109]
	v_add_co_u32 v51, vcc_lo, 0xfc0, v41
	v_add_co_ci_u32_e32 v52, vcc_lo, 0, v42, vcc_lo
	v_add_co_u32 v41, vcc_lo, 0x800, v41
	v_add_co_ci_u32_e32 v42, vcc_lo, 0, v42, vcc_lo
	;; [unrolled: 2-line block ×3, first 2 shown]
	v_mul_i32_i24_e32 v108, 7, v100
	v_add_co_u32 v53, vcc_lo, 0x800, v55
	v_add_co_ci_u32_e32 v54, vcc_lo, 0, v56, vcc_lo
	v_add_co_u32 v63, vcc_lo, 0xfc0, v55
	v_add_co_ci_u32_e32 v64, vcc_lo, 0, v56, vcc_lo
	s_clause 0x7
	global_load_dwordx4 v[39:42], v[41:42], off offset:1984
	global_load_dwordx4 v[43:46], v[51:52], off offset:16
	;; [unrolled: 1-line block ×3, first 2 shown]
	global_load_dwordx2 v[120:121], v[51:52], off offset:48
	global_load_dwordx4 v[51:54], v[53:54], off offset:1984
	global_load_dwordx4 v[55:58], v[63:64], off offset:32
	;; [unrolled: 1-line block ×3, first 2 shown]
	global_load_dwordx2 v[122:123], v[63:64], off offset:48
	v_lshlrev_b64 v[63:64], 3, v[108:109]
	v_mul_i32_i24_e32 v108, 7, v99
	v_add_co_u32 v65, vcc_lo, s8, v63
	v_add_co_ci_u32_e32 v66, vcc_lo, s9, v64, vcc_lo
	v_lshlrev_b64 v[108:109], 3, v[108:109]
	v_add_co_u32 v63, vcc_lo, 0x800, v65
	v_add_co_ci_u32_e32 v64, vcc_lo, 0, v66, vcc_lo
	v_add_co_u32 v110, vcc_lo, 0xfc0, v65
	v_add_co_ci_u32_e32 v111, vcc_lo, 0, v66, vcc_lo
	v_add_co_u32 v99, vcc_lo, s8, v108
	s_clause 0x3
	global_load_dwordx4 v[63:66], v[63:64], off offset:1984
	global_load_dwordx4 v[100:103], v[110:111], off offset:32
	;; [unrolled: 1-line block ×3, first 2 shown]
	global_load_dwordx2 v[124:125], v[110:111], off offset:48
	v_add_co_ci_u32_e32 v110, vcc_lo, s9, v109, vcc_lo
	v_add_co_u32 v108, vcc_lo, 0x800, v99
	v_add_co_ci_u32_e32 v109, vcc_lo, 0, v110, vcc_lo
	v_add_co_u32 v126, vcc_lo, 0xfc0, v99
	v_add_co_ci_u32_e32 v127, vcc_lo, 0, v110, vcc_lo
	s_clause 0x3
	global_load_dwordx4 v[108:111], v[108:109], off offset:1984
	global_load_dwordx4 v[112:115], v[126:127], off offset:32
	global_load_dwordx4 v[116:119], v[126:127], off offset:16
	global_load_dwordx2 v[126:127], v[126:127], off offset:48
	ds_read2st64_b32 v[128:129], v32 offset0:16 offset1:18
	ds_read2st64_b32 v[130:131], v32 offset0:48 offset1:50
	;; [unrolled: 1-line block ×14, first 2 shown]
	ds_read_b32 v32, v35
	ds_read_b32 v34, v34
	;; [unrolled: 1-line block ×4, first 2 shown]
	s_waitcnt vmcnt(15) lgkmcnt(17)
	v_mul_f32_e32 v35, v42, v128
	s_waitcnt vmcnt(14) lgkmcnt(15)
	v_mul_f32_e32 v156, v45, v132
	s_waitcnt vmcnt(13)
	v_mul_f32_e32 v99, v50, v130
	s_waitcnt lgkmcnt(14)
	v_mul_f32_e32 v157, v40, v134
	s_waitcnt lgkmcnt(13)
	;; [unrolled: 2-line block ×3, first 2 shown]
	v_mul_f32_e32 v159, v43, v138
	s_waitcnt vmcnt(12) lgkmcnt(11)
	v_mul_f32_e32 v160, v120, v140
	v_mul_f32_e32 v138, v44, v138
	;; [unrolled: 1-line block ×7, first 2 shown]
	s_waitcnt vmcnt(11) lgkmcnt(10)
	v_mul_f32_e32 v161, v54, v143
	s_waitcnt vmcnt(10) lgkmcnt(9)
	v_mul_f32_e32 v162, v58, v145
	;; [unrolled: 2-line block ×3, first 2 shown]
	s_waitcnt lgkmcnt(7)
	v_mul_f32_e32 v164, v52, v149
	s_waitcnt lgkmcnt(6)
	v_mul_f32_e32 v165, v56, v151
	v_mul_f32_e32 v149, v51, v149
	;; [unrolled: 1-line block ×7, first 2 shown]
	s_waitcnt lgkmcnt(5)
	v_mul_f32_e32 v166, v59, v153
	s_waitcnt vmcnt(8) lgkmcnt(4)
	v_mul_f32_e32 v167, v122, v155
	v_mul_f32_e32 v153, v60, v153
	;; [unrolled: 1-line block ×3, first 2 shown]
	v_fma_f32 v35, v3, v41, -v35
	v_fma_f32 v41, v9, v49, -v99
	v_fmac_f32_e32 v156, v7, v46
	v_fma_f32 v39, v5, v39, -v157
	v_fma_f32 v46, v11, v47, -v158
	v_fmac_f32_e32 v159, v13, v44
	v_fmac_f32_e32 v160, v15, v121
	v_fma_f32 v13, v13, v43, -v138
	v_fmac_f32_e32 v134, v5, v40
	v_fmac_f32_e32 v136, v11, v48
	;; [unrolled: 3-line block ×3, first 2 shown]
	v_fma_f32 v3, v18, v53, -v161
	v_fma_f32 v7, v24, v57, -v162
	v_fmac_f32_e32 v163, v22, v62
	v_fma_f32 v9, v20, v51, -v164
	v_fma_f32 v11, v26, v55, -v165
	v_fmac_f32_e32 v149, v20, v52
	v_fmac_f32_e32 v151, v26, v56
	v_fma_f32 v20, v22, v61, -v147
	v_fmac_f32_e32 v143, v18, v54
	v_fmac_f32_e32 v145, v24, v58
	s_waitcnt vmcnt(7)
	v_mul_f32_e32 v18, v66, v142
	s_waitcnt vmcnt(6)
	v_mul_f32_e32 v22, v103, v144
	;; [unrolled: 2-line block ×3, first 2 shown]
	v_mul_f32_e32 v26, v64, v148
	v_mul_f32_e32 v40, v101, v150
	;; [unrolled: 1-line block ×3, first 2 shown]
	s_waitcnt vmcnt(4)
	v_mul_f32_e32 v43, v124, v154
	v_mul_f32_e32 v44, v105, v152
	;; [unrolled: 1-line block ×8, first 2 shown]
	v_fma_f32 v15, v15, v120, -v140
	v_fmac_f32_e32 v166, v28, v60
	v_fmac_f32_e32 v167, v30, v123
	v_fma_f32 v28, v28, v59, -v153
	v_fma_f32 v30, v30, v122, -v155
	s_waitcnt lgkmcnt(0)
	v_sub_f32_e32 v52, v31, v156
	v_sub_f32_e32 v55, v39, v46
	;; [unrolled: 1-line block ×8, first 2 shown]
	v_fma_f32 v18, v17, v65, -v18
	v_fma_f32 v22, v23, v102, -v22
	v_fmac_f32_e32 v24, v21, v107
	v_fma_f32 v60, v19, v63, -v26
	v_fma_f32 v26, v25, v100, -v40
	v_fmac_f32_e32 v42, v27, v105
	v_fmac_f32_e32 v43, v29, v125
	v_fma_f32 v27, v27, v104, -v44
	v_fma_f32 v29, v29, v124, -v45
	v_fmac_f32_e32 v47, v19, v64
	v_fmac_f32_e32 v48, v25, v101
	v_fma_f32 v19, v21, v106, -v49
	v_fmac_f32_e32 v50, v17, v66
	v_fmac_f32_e32 v51, v23, v103
	s_waitcnt vmcnt(3)
	v_mul_f32_e32 v17, v111, v129
	s_waitcnt vmcnt(2)
	v_mul_f32_e32 v21, v115, v131
	;; [unrolled: 2-line block ×3, first 2 shown]
	v_mul_f32_e32 v44, v116, v139
	s_waitcnt vmcnt(0)
	v_mul_f32_e32 v45, v126, v141
	v_mul_f32_e32 v49, v117, v139
	v_mul_f32_e32 v61, v127, v141
	v_mul_f32_e32 v62, v108, v135
	v_mul_f32_e32 v63, v112, v137
	v_sub_f32_e32 v41, v35, v41
	v_sub_f32_e32 v15, v13, v15
	;; [unrolled: 1-line block ×7, first 2 shown]
	v_mul_f32_e32 v25, v109, v135
	v_mul_f32_e32 v40, v113, v137
	v_mul_f32_e32 v64, v119, v133
	v_mul_f32_e32 v65, v110, v129
	v_mul_f32_e32 v66, v114, v131
	v_sub_f32_e32 v100, v55, v46
	v_fma_f32 v103, v31, 2.0, -v52
	v_fma_f32 v104, v39, 2.0, -v55
	;; [unrolled: 1-line block ×4, first 2 shown]
	v_add_f32_e32 v31, v7, v53
	v_sub_f32_e32 v37, v20, v59
	v_fma_f32 v32, v32, 2.0, -v53
	v_fma_f32 v39, v143, 2.0, -v59
	v_sub_f32_e32 v46, v60, v26
	v_sub_f32_e32 v43, v42, v43
	;; [unrolled: 1-line block ×5, first 2 shown]
	v_fma_f32 v17, v4, v110, -v17
	v_fma_f32 v21, v10, v114, -v21
	v_fmac_f32_e32 v23, v8, v119
	v_fmac_f32_e32 v44, v14, v117
	;; [unrolled: 1-line block ×3, first 2 shown]
	v_fma_f32 v14, v14, v116, -v49
	v_fma_f32 v16, v16, v126, -v61
	v_fmac_f32_e32 v62, v6, v109
	v_fmac_f32_e32 v63, v12, v113
	v_add_f32_e32 v99, v41, v52
	v_add_f32_e32 v101, v56, v15
	v_fma_f32 v13, v13, 2.0, -v15
	v_fma_f32 v106, v35, 2.0, -v41
	v_sub_f32_e32 v15, v11, v54
	v_add_f32_e32 v35, v58, v30
	v_fma_f32 v9, v9, 2.0, -v11
	v_fma_f32 v28, v28, 2.0, -v30
	;; [unrolled: 1-line block ×5, first 2 shown]
	v_sub_f32_e32 v22, v18, v22
	v_sub_f32_e32 v24, v33, v24
	;; [unrolled: 1-line block ×3, first 2 shown]
	v_fma_f32 v54, v6, v108, -v25
	v_fma_f32 v40, v12, v112, -v40
	;; [unrolled: 1-line block ×3, first 2 shown]
	v_fmac_f32_e32 v65, v4, v111
	v_fmac_f32_e32 v66, v10, v115
	v_sub_f32_e32 v12, v32, v39
	v_fma_f32 v39, v53, 2.0, -v31
	v_fma_f32 v49, v20, 2.0, -v37
	v_sub_f32_e32 v20, v46, v43
	v_add_f32_e32 v53, v48, v29
	v_fma_f32 v27, v27, 2.0, -v29
	v_fma_f32 v29, v36, 2.0, -v19
	;; [unrolled: 1-line block ×3, first 2 shown]
	v_sub_f32_e32 v21, v17, v21
	v_sub_f32_e32 v42, v34, v23
	;; [unrolled: 1-line block ×5, first 2 shown]
	v_fma_f32 v7, v3, 2.0, -v7
	v_fma_f32 v64, v52, 2.0, -v99
	v_fmamk_f32 v4, v35, 0x3f3504f3, v31
	v_fmamk_f32 v3, v15, 0x3f3504f3, v37
	v_sub_f32_e32 v10, v9, v28
	v_sub_f32_e32 v28, v38, v41
	v_fma_f32 v11, v11, 2.0, -v15
	v_fma_f32 v41, v58, 2.0, -v35
	v_add_f32_e32 v52, v22, v24
	v_sub_f32_e32 v58, v19, v51
	v_fma_f32 v33, v33, 2.0, -v24
	v_fma_f32 v50, v50, 2.0, -v51
	;; [unrolled: 1-line block ×5, first 2 shown]
	v_sub_f32_e32 v40, v54, v40
	v_sub_f32_e32 v47, v0, v6
	;; [unrolled: 1-line block ×3, first 2 shown]
	v_fmamk_f32 v26, v101, 0x3f3504f3, v99
	v_sub_f32_e32 v59, v65, v66
	v_add_f32_e32 v66, v21, v42
	v_add_f32_e32 v111, v45, v43
	v_sub_f32_e32 v109, v104, v13
	v_sub_f32_e32 v13, v30, v7
	v_fmac_f32_e32 v4, 0x3f3504f3, v15
	v_fmac_f32_e32 v3, 0xbf3504f3, v35
	v_add_f32_e32 v6, v12, v10
	v_fmamk_f32 v7, v11, 0xbf3504f3, v49
	v_fma_f32 v32, v32, 2.0, -v12
	v_fma_f32 v35, v38, 2.0, -v28
	v_fmamk_f32 v15, v20, 0x3f3504f3, v58
	v_sub_f32_e32 v50, v33, v50
	v_sub_f32_e32 v27, v51, v27
	;; [unrolled: 1-line block ×4, first 2 shown]
	v_fma_f32 v46, v46, 2.0, -v20
	v_fma_f32 v63, v19, 2.0, -v58
	;; [unrolled: 1-line block ×7, first 2 shown]
	v_sub_f32_e32 v102, v57, v5
	v_fma_f32 v5, v128, 2.0, -v5
	v_fmac_f32_e32 v26, 0x3f3504f3, v100
	v_fma_f32 v61, v24, 2.0, -v52
	v_fma_f32 v48, v48, 2.0, -v53
	v_sub_f32_e32 v110, v40, v23
	v_fma_f32 v19, v65, 2.0, -v59
	v_fma_f32 v43, v62, 2.0, -v45
	;; [unrolled: 1-line block ×5, first 2 shown]
	v_fmamk_f32 v8, v41, 0xbf3504f3, v39
	v_fma_f32 v38, v30, 2.0, -v13
	v_fma_f32 v30, v9, 2.0, -v10
	v_fmamk_f32 v16, v53, 0x3f3504f3, v52
	v_sub_f32_e32 v112, v47, v59
	v_fma_f32 v14, v12, 2.0, -v6
	v_fmac_f32_e32 v7, 0xbf3504f3, v41
	v_sub_f32_e32 v12, v32, v35
	v_fmac_f32_e32 v15, 0xbf3504f3, v53
	v_add_f32_e32 v18, v50, v27
	v_fmamk_f32 v23, v46, 0xbf3504f3, v63
	v_fma_f32 v53, v33, 2.0, -v50
	v_fma_f32 v35, v22, 2.0, -v36
	;; [unrolled: 1-line block ×4, first 2 shown]
	v_sub_f32_e32 v41, v54, v34
	v_sub_f32_e32 v62, v0, v21
	;; [unrolled: 1-line block ×4, first 2 shown]
	v_fma_f32 v28, v99, 2.0, -v26
	v_fmamk_f32 v24, v48, 0xbf3504f3, v61
	v_sub_f32_e32 v51, v113, v19
	v_sub_f32_e32 v44, v43, v44
	v_fma_f32 v99, v40, 2.0, -v110
	v_fmamk_f32 v40, v114, 0xbf3504f3, v65
	v_fmac_f32_e32 v8, 0x3f3504f3, v11
	v_sub_f32_e32 v11, v38, v30
	v_sub_f32_e32 v17, v60, v36
	v_fma_f32 v19, v49, 2.0, -v7
	v_fmac_f32_e32 v23, 0xbf3504f3, v48
	v_sub_f32_e32 v36, v53, v35
	v_sub_f32_e32 v35, v59, v27
	v_fma_f32 v0, v0, 2.0, -v62
	v_fma_f32 v49, v54, 2.0, -v41
	;; [unrolled: 1-line block ×4, first 2 shown]
	v_fmac_f32_e32 v16, 0x3f3504f3, v20
	v_fmamk_f32 v30, v111, 0x3f3504f3, v66
	v_fma_f32 v115, v47, 2.0, -v112
	v_fmac_f32_e32 v24, 0x3f3504f3, v46
	v_sub_f32_e32 v37, v62, v44
	v_fma_f32 v27, v113, 2.0, -v51
	v_fma_f32 v47, v43, 2.0, -v44
	v_fmac_f32_e32 v40, 0x3f3504f3, v99
	v_fma_f32 v21, v38, 2.0, -v11
	v_add_f32_e32 v38, v51, v41
	v_fma_f32 v41, v63, 2.0, -v23
	v_fma_f32 v43, v59, 2.0, -v35
	v_sub_f32_e32 v49, v0, v49
	v_sub_f32_e32 v63, v105, v106
	v_fma_f32 v59, v55, 2.0, -v100
	v_fma_f32 v106, v57, 2.0, -v102
	;; [unrolled: 1-line block ×5, first 2 shown]
	v_fmac_f32_e32 v30, 0x3f3504f3, v110
	v_fma_f32 v42, v61, 2.0, -v24
	v_sub_f32_e32 v50, v27, v47
	v_fma_f32 v47, v62, 2.0, -v37
	v_fma_f32 v52, v65, 2.0, -v40
	v_sub_f32_e32 v65, v107, v120
	v_mad_u64_u32 v[61:62], null, s4, v95, 0
	v_fmamk_f32 v25, v100, 0x3f3504f3, v102
	v_fma_f32 v44, v53, 2.0, -v36
	v_fma_f32 v53, v0, 2.0, -v49
	;; [unrolled: 1-line block ×3, first 2 shown]
	v_fmamk_f32 v57, v59, 0xbf3504f3, v106
	v_fma_f32 v20, v39, 2.0, -v8
	v_fmamk_f32 v39, v99, 0xbf3504f3, v115
	v_fma_f32 v46, v66, 2.0, -v30
	v_sub_f32_e32 v55, v63, v65
	v_fma_f32 v99, v107, 2.0, -v65
	v_mad_u64_u32 v[65:66], null, s4, v98, 0
	v_fmac_f32_e32 v25, 0xbf3504f3, v101
	v_fma_f32 v103, v103, 2.0, -v108
	v_fma_f32 v105, v105, 2.0, -v63
	;; [unrolled: 1-line block ×5, first 2 shown]
	v_fmamk_f32 v58, v0, 0xbf3504f3, v64
	v_fmac_f32_e32 v57, 0xbf3504f3, v0
	v_mov_b32_e32 v0, v62
	v_fma_f32 v54, v27, 2.0, -v50
	v_fma_f32 v27, v102, 2.0, -v25
	v_sub_f32_e32 v100, v103, v99
	v_sub_f32_e32 v99, v105, v101
	v_mad_u64_u32 v[101:102], null, s4, v97, 0
	v_fmac_f32_e32 v58, 0x3f3504f3, v59
	v_fma_f32 v59, v63, 2.0, -v55
	v_mad_u64_u32 v[62:63], null, s5, v95, v[0:1]
	v_mov_b32_e32 v0, v66
	v_fma_f32 v63, v106, 2.0, -v57
	v_fma_f32 v104, v103, 2.0, -v100
	;; [unrolled: 1-line block ×3, first 2 shown]
	v_mov_b32_e32 v66, v102
	v_mad_u64_u32 v[105:106], null, s5, v98, v[0:1]
	v_mad_u64_u32 v[106:107], null, s4, v96, 0
	v_add_co_u32 v0, vcc_lo, s6, v1
	v_lshlrev_b64 v[61:62], 3, v[61:62]
	v_mad_u64_u32 v[97:98], null, s5, v97, v[66:67]
	v_add_co_ci_u32_e32 v1, vcc_lo, s7, v2, vcc_lo
	v_mov_b32_e32 v66, v105
	v_mov_b32_e32 v2, v107
	v_add_co_u32 v61, vcc_lo, v0, v61
	v_add_co_ci_u32_e32 v62, vcc_lo, v1, v62, vcc_lo
	v_lshlrev_b64 v[65:66], 3, v[65:66]
	v_mad_u64_u32 v[95:96], null, s5, v96, v[2:3]
	v_mov_b32_e32 v102, v97
	v_mad_u64_u32 v[96:97], null, s4, v93, 0
	v_add_co_u32 v65, vcc_lo, v0, v65
	global_store_dwordx2 v[61:62], v[103:104], off
	v_lshlrev_b64 v[61:62], 3, v[101:102]
	v_mad_u64_u32 v[101:102], null, s4, v94, 0
	v_fma_f32 v64, v64, 2.0, -v58
	v_add_co_ci_u32_e32 v66, vcc_lo, v1, v66, vcc_lo
	v_mov_b32_e32 v107, v95
	v_mov_b32_e32 v2, v97
	v_add_f32_e32 v56, v108, v109
	global_store_dwordx2 v[65:66], v[63:64], off
	v_mov_b32_e32 v63, v102
	v_lshlrev_b64 v[64:65], 3, v[106:107]
	v_mad_u64_u32 v[97:98], null, s5, v93, v[2:3]
	v_add_co_u32 v61, vcc_lo, v0, v61
	v_add_co_ci_u32_e32 v62, vcc_lo, v1, v62, vcc_lo
	v_mad_u64_u32 v[93:94], null, s5, v94, v[63:64]
	v_mad_u64_u32 v[94:95], null, s4, v92, 0
	v_add_co_u32 v63, vcc_lo, v0, v64
	v_fma_f32 v33, v60, 2.0, -v17
	v_fma_f32 v60, v108, 2.0, -v56
	v_add_co_ci_u32_e32 v64, vcc_lo, v1, v65, vcc_lo
	v_mov_b32_e32 v2, v95
	v_mov_b32_e32 v102, v93
	global_store_dwordx2 v[61:62], v[59:60], off
	global_store_dwordx2 v[63:64], v[27:28], off
	v_mad_u64_u32 v[64:65], null, s4, v90, 0
	v_mad_u64_u32 v[61:62], null, s5, v92, v[2:3]
	;; [unrolled: 1-line block ×3, first 2 shown]
	v_lshlrev_b64 v[27:28], 3, v[96:97]
	v_lshlrev_b64 v[59:60], 3, v[101:102]
	v_fmac_f32_e32 v39, 0xbf3504f3, v114
	v_fma_f32 v48, v51, 2.0, -v38
	v_mov_b32_e32 v95, v61
	v_mov_b32_e32 v61, v65
	;; [unrolled: 1-line block ×3, first 2 shown]
	v_add_co_u32 v27, vcc_lo, v0, v27
	v_lshlrev_b64 v[65:66], 3, v[94:95]
	v_add_co_ci_u32_e32 v28, vcc_lo, v1, v28, vcc_lo
	v_mad_u64_u32 v[91:92], null, s5, v91, v[2:3]
	v_mad_u64_u32 v[92:93], null, s5, v90, v[61:62]
	;; [unrolled: 1-line block ×3, first 2 shown]
	v_add_co_u32 v59, vcc_lo, v0, v59
	v_add_co_ci_u32_e32 v60, vcc_lo, v1, v60, vcc_lo
	v_add_co_u32 v65, vcc_lo, v0, v65
	v_add_co_ci_u32_e32 v66, vcc_lo, v1, v66, vcc_lo
	v_mov_b32_e32 v2, v94
	global_store_dwordx2 v[27:28], v[99:100], off
	global_store_dwordx2 v[59:60], v[57:58], off
	v_mov_b32_e32 v63, v91
	global_store_dwordx2 v[65:66], v[55:56], off
	v_mad_u64_u32 v[58:59], null, s4, v86, 0
	v_mad_u64_u32 v[55:56], null, s5, v89, v[2:3]
	;; [unrolled: 1-line block ×3, first 2 shown]
	v_lshlrev_b64 v[27:28], 3, v[62:63]
	v_mov_b32_e32 v65, v92
	v_mad_u64_u32 v[62:63], null, s4, v88, 0
	v_mov_b32_e32 v94, v55
	v_fma_f32 v51, v115, 2.0, -v39
	v_mov_b32_e32 v2, v57
	v_lshlrev_b64 v[60:61], 3, v[64:65]
	v_add_co_u32 v27, vcc_lo, v0, v27
	v_mov_b32_e32 v55, v63
	v_mad_u64_u32 v[64:65], null, s5, v87, v[2:3]
	v_mov_b32_e32 v2, v59
	v_lshlrev_b64 v[65:66], 3, v[93:94]
	v_add_co_ci_u32_e32 v28, vcc_lo, v1, v28, vcc_lo
	v_add_co_u32 v60, vcc_lo, v0, v60
	v_mad_u64_u32 v[86:87], null, s5, v86, v[2:3]
	v_add_co_ci_u32_e32 v61, vcc_lo, v1, v61, vcc_lo
	v_mov_b32_e32 v57, v64
	v_mad_u64_u32 v[63:64], null, s5, v88, v[55:56]
	v_add_co_u32 v64, vcc_lo, v0, v65
	v_add_co_ci_u32_e32 v65, vcc_lo, v1, v66, vcc_lo
	v_mov_b32_e32 v59, v86
	global_store_dwordx2 v[27:28], v[25:26], off
	global_store_dwordx2 v[60:61], v[53:54], off
	;; [unrolled: 1-line block ×3, first 2 shown]
	v_mad_u64_u32 v[51:52], null, s4, v85, 0
	v_lshlrev_b64 v[25:26], 3, v[56:57]
	v_fmamk_f32 v29, v110, 0x3f3504f3, v112
	v_lshlrev_b64 v[27:28], 3, v[58:59]
	v_mad_u64_u32 v[55:56], null, s4, v84, 0
	v_lshlrev_b64 v[53:54], 3, v[62:63]
	v_add_co_u32 v25, vcc_lo, v0, v25
	v_mov_b32_e32 v2, v52
	v_fmac_f32_e32 v29, 0xbf3504f3, v111
	v_add_co_ci_u32_e32 v26, vcc_lo, v1, v26, vcc_lo
	v_add_co_u32 v27, vcc_lo, v0, v27
	v_add_co_ci_u32_e32 v28, vcc_lo, v1, v28, vcc_lo
	v_mad_u64_u32 v[57:58], null, s5, v85, v[2:3]
	v_add_co_u32 v53, vcc_lo, v0, v53
	v_mad_u64_u32 v[58:59], null, s4, v83, 0
	v_fma_f32 v45, v112, 2.0, -v29
	v_mov_b32_e32 v2, v56
	v_add_co_ci_u32_e32 v54, vcc_lo, v1, v54, vcc_lo
	v_mad_u64_u32 v[60:61], null, s4, v82, 0
	global_store_dwordx2 v[25:26], v[47:48], off
	global_store_dwordx2 v[27:28], v[45:46], off
	;; [unrolled: 1-line block ×3, first 2 shown]
	v_mad_u64_u32 v[48:49], null, s4, v81, 0
	v_mad_u64_u32 v[62:63], null, s5, v84, v[2:3]
	v_mov_b32_e32 v2, v59
	v_mov_b32_e32 v52, v57
	;; [unrolled: 1-line block ×3, first 2 shown]
	v_fma_f32 v13, v13, 2.0, -v5
	v_mad_u64_u32 v[45:46], null, s5, v83, v[2:3]
	v_mov_b32_e32 v2, v49
	v_mov_b32_e32 v56, v62
	v_lshlrev_b64 v[25:26], 3, v[51:52]
	v_mad_u64_u32 v[27:28], null, s5, v82, v[27:28]
	v_mad_u64_u32 v[53:54], null, s5, v81, v[2:3]
	v_lshlrev_b64 v[46:47], 3, v[55:56]
	v_mad_u64_u32 v[54:55], null, s4, v80, 0
	v_add_co_u32 v25, vcc_lo, v0, v25
	v_mov_b32_e32 v59, v45
	v_add_co_ci_u32_e32 v26, vcc_lo, v1, v26, vcc_lo
	v_mad_u64_u32 v[51:52], null, s4, v79, 0
	v_mov_b32_e32 v61, v27
	v_add_co_u32 v27, vcc_lo, v0, v46
	v_add_co_ci_u32_e32 v28, vcc_lo, v1, v47, vcc_lo
	v_mov_b32_e32 v47, v55
	v_lshlrev_b64 v[45:46], 3, v[58:59]
	v_lshlrev_b64 v[49:50], 3, v[60:61]
	v_mov_b32_e32 v2, v52
	v_mad_u64_u32 v[58:59], null, s5, v80, v[47:48]
	v_mad_u64_u32 v[59:60], null, s4, v78, 0
	v_add_co_u32 v45, vcc_lo, v0, v45
	v_add_co_ci_u32_e32 v46, vcc_lo, v1, v46, vcc_lo
	v_add_co_u32 v56, vcc_lo, v0, v49
	v_mov_b32_e32 v49, v53
	v_mad_u64_u32 v[52:53], null, s5, v79, v[2:3]
	v_mov_b32_e32 v2, v60
	global_store_dwordx2 v[25:26], v[39:40], off
	global_store_dwordx2 v[27:28], v[37:38], off
	;; [unrolled: 1-line block ×3, first 2 shown]
	v_lshlrev_b64 v[25:26], 3, v[48:49]
	v_mov_b32_e32 v55, v58
	v_add_co_ci_u32_e32 v57, vcc_lo, v1, v50, vcc_lo
	v_lshlrev_b64 v[27:28], 3, v[51:52]
	v_mad_u64_u32 v[37:38], null, s5, v78, v[2:3]
	v_mad_u64_u32 v[38:39], null, s4, v77, 0
	v_add_co_u32 v25, vcc_lo, v0, v25
	v_lshlrev_b64 v[29:30], 3, v[54:55]
	v_add_co_ci_u32_e32 v26, vcc_lo, v1, v26, vcc_lo
	v_add_co_u32 v27, vcc_lo, v0, v27
	v_add_co_ci_u32_e32 v28, vcc_lo, v1, v28, vcc_lo
	v_add_co_u32 v29, vcc_lo, v0, v29
	v_mov_b32_e32 v60, v37
	v_mov_b32_e32 v2, v39
	v_add_co_ci_u32_e32 v30, vcc_lo, v1, v30, vcc_lo
	global_store_dwordx2 v[56:57], v[43:44], off
	global_store_dwordx2 v[25:26], v[41:42], off
	global_store_dwordx2 v[27:28], v[33:34], off
	global_store_dwordx2 v[29:30], v[31:32], off
	v_lshlrev_b64 v[25:26], 3, v[59:60]
	v_mad_u64_u32 v[27:28], null, s5, v77, v[2:3]
	v_mad_u64_u32 v[28:29], null, s4, v75, 0
	;; [unrolled: 1-line block ×3, first 2 shown]
	v_add_co_u32 v25, vcc_lo, v0, v25
	v_add_co_ci_u32_e32 v26, vcc_lo, v1, v26, vcc_lo
	v_mov_b32_e32 v39, v27
	v_mov_b32_e32 v2, v29
	v_mad_u64_u32 v[32:33], null, s4, v74, 0
	global_store_dwordx2 v[25:26], v[35:36], off
	v_lshlrev_b64 v[26:27], 3, v[38:39]
	v_mov_b32_e32 v25, v31
	v_mad_u64_u32 v[34:35], null, s5, v75, v[2:3]
	v_mov_b32_e32 v2, v33
	v_mad_u64_u32 v[35:36], null, s5, v76, v[25:26]
	v_mad_u64_u32 v[36:37], null, s4, v72, 0
	v_add_co_u32 v25, vcc_lo, v0, v26
	v_add_co_ci_u32_e32 v26, vcc_lo, v1, v27, vcc_lo
	v_mov_b32_e32 v29, v34
	v_mad_u64_u32 v[33:34], null, s5, v74, v[2:3]
	v_mov_b32_e32 v2, v37
	global_store_dwordx2 v[25:26], v[23:24], off
	v_lshlrev_b64 v[23:24], 3, v[28:29]
	v_mov_b32_e32 v31, v35
	v_mad_u64_u32 v[27:28], null, s5, v72, v[2:3]
	v_mad_u64_u32 v[28:29], null, s4, v73, 0
	v_lshlrev_b64 v[25:26], 3, v[30:31]
	v_add_co_u32 v23, vcc_lo, v0, v23
	v_lshlrev_b64 v[30:31], 3, v[32:33]
	v_mov_b32_e32 v37, v27
	v_add_co_ci_u32_e32 v24, vcc_lo, v1, v24, vcc_lo
	v_mov_b32_e32 v2, v29
	v_add_co_u32 v25, vcc_lo, v0, v25
	v_lshlrev_b64 v[32:33], 3, v[36:37]
	v_add_co_ci_u32_e32 v26, vcc_lo, v1, v26, vcc_lo
	v_add_co_u32 v30, vcc_lo, v0, v30
	v_mad_u64_u32 v[34:35], null, s5, v73, v[2:3]
	v_add_co_ci_u32_e32 v31, vcc_lo, v1, v31, vcc_lo
	v_mad_u64_u32 v[35:36], null, s4, v68, 0
	v_add_co_u32 v32, vcc_lo, v0, v32
	v_add_co_ci_u32_e32 v33, vcc_lo, v1, v33, vcc_lo
	global_store_dwordx2 v[23:24], v[17:18], off
	global_store_dwordx2 v[25:26], v[15:16], off
	;; [unrolled: 1-line block ×4, first 2 shown]
	v_mad_u64_u32 v[17:18], null, s4, v71, 0
	v_mad_u64_u32 v[19:20], null, s4, v67, 0
	v_mov_b32_e32 v2, v36
	v_mov_b32_e32 v29, v34
	v_mad_u64_u32 v[21:22], null, s5, v68, v[2:3]
	v_mov_b32_e32 v2, v18
	v_mov_b32_e32 v18, v20
	v_lshlrev_b64 v[15:16], 3, v[28:29]
	v_mad_u64_u32 v[22:23], null, s4, v69, 0
	v_mad_u64_u32 v[24:25], null, s5, v71, v[2:3]
	;; [unrolled: 1-line block ×4, first 2 shown]
	v_add_co_u32 v15, vcc_lo, v0, v15
	v_add_co_ci_u32_e32 v16, vcc_lo, v1, v16, vcc_lo
	v_mov_b32_e32 v2, v23
	v_mov_b32_e32 v36, v21
	;; [unrolled: 1-line block ×3, first 2 shown]
	global_store_dwordx2 v[15:16], v[13:14], off
	v_mov_b32_e32 v20, v25
	v_mad_u64_u32 v[15:16], null, s5, v69, v[2:3]
	v_mov_b32_e32 v2, v27
	v_lshlrev_b64 v[13:14], 3, v[35:36]
	v_lshlrev_b64 v[16:17], 3, v[17:18]
	;; [unrolled: 1-line block ×3, first 2 shown]
	v_mad_u64_u32 v[24:25], null, s5, v70, v[2:3]
	v_mov_b32_e32 v23, v15
	v_add_co_u32 v13, vcc_lo, v0, v13
	v_add_co_ci_u32_e32 v14, vcc_lo, v1, v14, vcc_lo
	v_add_co_u32 v15, vcc_lo, v0, v16
	v_mov_b32_e32 v27, v24
	v_lshlrev_b64 v[20:21], 3, v[22:23]
	v_add_co_ci_u32_e32 v16, vcc_lo, v1, v17, vcc_lo
	v_add_co_u32 v17, vcc_lo, v0, v18
	v_lshlrev_b64 v[22:23], 3, v[26:27]
	v_add_co_ci_u32_e32 v18, vcc_lo, v1, v19, vcc_lo
	v_add_co_u32 v19, vcc_lo, v0, v20
	v_add_co_ci_u32_e32 v20, vcc_lo, v1, v21, vcc_lo
	v_add_co_u32 v0, vcc_lo, v0, v22
	v_add_co_ci_u32_e32 v1, vcc_lo, v1, v23, vcc_lo
	global_store_dwordx2 v[13:14], v[9:10], off
	global_store_dwordx2 v[15:16], v[11:12], off
	;; [unrolled: 1-line block ×5, first 2 shown]
.LBB0_10:
	s_endpgm
	.section	.rodata,"a",@progbits
	.p2align	6, 0x0
	.amdhsa_kernel fft_rtc_fwd_len4096_factors_8_16_4_8_wgs_256_tpt_128_halfLds_dim3_sp_ip_CI_sbrr_dirReg
		.amdhsa_group_segment_fixed_size 0
		.amdhsa_private_segment_fixed_size 0
		.amdhsa_kernarg_size 80
		.amdhsa_user_sgpr_count 6
		.amdhsa_user_sgpr_private_segment_buffer 1
		.amdhsa_user_sgpr_dispatch_ptr 0
		.amdhsa_user_sgpr_queue_ptr 0
		.amdhsa_user_sgpr_kernarg_segment_ptr 1
		.amdhsa_user_sgpr_dispatch_id 0
		.amdhsa_user_sgpr_flat_scratch_init 0
		.amdhsa_user_sgpr_private_segment_size 0
		.amdhsa_wavefront_size32 1
		.amdhsa_uses_dynamic_stack 0
		.amdhsa_system_sgpr_private_segment_wavefront_offset 0
		.amdhsa_system_sgpr_workgroup_id_x 1
		.amdhsa_system_sgpr_workgroup_id_y 0
		.amdhsa_system_sgpr_workgroup_id_z 0
		.amdhsa_system_sgpr_workgroup_info 0
		.amdhsa_system_vgpr_workitem_id 0
		.amdhsa_next_free_vgpr 195
		.amdhsa_next_free_sgpr 18
		.amdhsa_reserve_vcc 1
		.amdhsa_reserve_flat_scratch 0
		.amdhsa_float_round_mode_32 0
		.amdhsa_float_round_mode_16_64 0
		.amdhsa_float_denorm_mode_32 3
		.amdhsa_float_denorm_mode_16_64 3
		.amdhsa_dx10_clamp 1
		.amdhsa_ieee_mode 1
		.amdhsa_fp16_overflow 0
		.amdhsa_workgroup_processor_mode 1
		.amdhsa_memory_ordered 1
		.amdhsa_forward_progress 0
		.amdhsa_shared_vgpr_count 0
		.amdhsa_exception_fp_ieee_invalid_op 0
		.amdhsa_exception_fp_denorm_src 0
		.amdhsa_exception_fp_ieee_div_zero 0
		.amdhsa_exception_fp_ieee_overflow 0
		.amdhsa_exception_fp_ieee_underflow 0
		.amdhsa_exception_fp_ieee_inexact 0
		.amdhsa_exception_int_div_zero 0
	.end_amdhsa_kernel
	.text
.Lfunc_end0:
	.size	fft_rtc_fwd_len4096_factors_8_16_4_8_wgs_256_tpt_128_halfLds_dim3_sp_ip_CI_sbrr_dirReg, .Lfunc_end0-fft_rtc_fwd_len4096_factors_8_16_4_8_wgs_256_tpt_128_halfLds_dim3_sp_ip_CI_sbrr_dirReg
                                        ; -- End function
	.section	.AMDGPU.csdata,"",@progbits
; Kernel info:
; codeLenInByte = 14788
; NumSgprs: 20
; NumVgprs: 195
; ScratchSize: 0
; MemoryBound: 0
; FloatMode: 240
; IeeeMode: 1
; LDSByteSize: 0 bytes/workgroup (compile time only)
; SGPRBlocks: 2
; VGPRBlocks: 24
; NumSGPRsForWavesPerEU: 20
; NumVGPRsForWavesPerEU: 195
; Occupancy: 4
; WaveLimiterHint : 1
; COMPUTE_PGM_RSRC2:SCRATCH_EN: 0
; COMPUTE_PGM_RSRC2:USER_SGPR: 6
; COMPUTE_PGM_RSRC2:TRAP_HANDLER: 0
; COMPUTE_PGM_RSRC2:TGID_X_EN: 1
; COMPUTE_PGM_RSRC2:TGID_Y_EN: 0
; COMPUTE_PGM_RSRC2:TGID_Z_EN: 0
; COMPUTE_PGM_RSRC2:TIDIG_COMP_CNT: 0
	.text
	.p2alignl 6, 3214868480
	.fill 48, 4, 3214868480
	.type	__hip_cuid_593a2f3da15c1810,@object ; @__hip_cuid_593a2f3da15c1810
	.section	.bss,"aw",@nobits
	.globl	__hip_cuid_593a2f3da15c1810
__hip_cuid_593a2f3da15c1810:
	.byte	0                               ; 0x0
	.size	__hip_cuid_593a2f3da15c1810, 1

	.ident	"AMD clang version 19.0.0git (https://github.com/RadeonOpenCompute/llvm-project roc-6.4.0 25133 c7fe45cf4b819c5991fe208aaa96edf142730f1d)"
	.section	".note.GNU-stack","",@progbits
	.addrsig
	.addrsig_sym __hip_cuid_593a2f3da15c1810
	.amdgpu_metadata
---
amdhsa.kernels:
  - .args:
      - .actual_access:  read_only
        .address_space:  global
        .offset:         0
        .size:           8
        .value_kind:     global_buffer
      - .actual_access:  read_only
        .address_space:  global
        .offset:         8
        .size:           8
        .value_kind:     global_buffer
      - .actual_access:  read_only
        .address_space:  global
        .offset:         16
        .size:           8
        .value_kind:     global_buffer
      - .offset:         24
        .size:           8
        .value_kind:     by_value
      - .actual_access:  read_only
        .address_space:  global
        .offset:         32
        .size:           8
        .value_kind:     global_buffer
      - .actual_access:  read_only
        .address_space:  global
        .offset:         40
        .size:           8
        .value_kind:     global_buffer
      - .offset:         48
        .size:           4
        .value_kind:     by_value
      - .actual_access:  read_only
        .address_space:  global
        .offset:         56
        .size:           8
        .value_kind:     global_buffer
      - .actual_access:  read_only
        .address_space:  global
        .offset:         64
        .size:           8
        .value_kind:     global_buffer
      - .address_space:  global
        .offset:         72
        .size:           8
        .value_kind:     global_buffer
    .group_segment_fixed_size: 0
    .kernarg_segment_align: 8
    .kernarg_segment_size: 80
    .language:       OpenCL C
    .language_version:
      - 2
      - 0
    .max_flat_workgroup_size: 256
    .name:           fft_rtc_fwd_len4096_factors_8_16_4_8_wgs_256_tpt_128_halfLds_dim3_sp_ip_CI_sbrr_dirReg
    .private_segment_fixed_size: 0
    .sgpr_count:     20
    .sgpr_spill_count: 0
    .symbol:         fft_rtc_fwd_len4096_factors_8_16_4_8_wgs_256_tpt_128_halfLds_dim3_sp_ip_CI_sbrr_dirReg.kd
    .uniform_work_group_size: 1
    .uses_dynamic_stack: false
    .vgpr_count:     195
    .vgpr_spill_count: 0
    .wavefront_size: 32
    .workgroup_processor_mode: 1
amdhsa.target:   amdgcn-amd-amdhsa--gfx1030
amdhsa.version:
  - 1
  - 2
...

	.end_amdgpu_metadata
